;; amdgpu-corpus repo=ROCm/rocFFT kind=compiled arch=gfx1100 opt=O3
	.text
	.amdgcn_target "amdgcn-amd-amdhsa--gfx1100"
	.amdhsa_code_object_version 6
	.protected	fft_rtc_back_len1890_factors_2_3_3_3_7_5_wgs_126_tpt_126_halfLds_dp_op_CI_CI_unitstride_sbrr_dirReg ; -- Begin function fft_rtc_back_len1890_factors_2_3_3_3_7_5_wgs_126_tpt_126_halfLds_dp_op_CI_CI_unitstride_sbrr_dirReg
	.globl	fft_rtc_back_len1890_factors_2_3_3_3_7_5_wgs_126_tpt_126_halfLds_dp_op_CI_CI_unitstride_sbrr_dirReg
	.p2align	8
	.type	fft_rtc_back_len1890_factors_2_3_3_3_7_5_wgs_126_tpt_126_halfLds_dp_op_CI_CI_unitstride_sbrr_dirReg,@function
fft_rtc_back_len1890_factors_2_3_3_3_7_5_wgs_126_tpt_126_halfLds_dp_op_CI_CI_unitstride_sbrr_dirReg: ; @fft_rtc_back_len1890_factors_2_3_3_3_7_5_wgs_126_tpt_126_halfLds_dp_op_CI_CI_unitstride_sbrr_dirReg
; %bb.0:
	s_clause 0x2
	s_load_b128 s[8:11], s[0:1], 0x0
	s_load_b128 s[4:7], s[0:1], 0x58
	;; [unrolled: 1-line block ×3, first 2 shown]
	v_mul_u32_u24_e32 v1, 0x209, v0
	v_mov_b32_e32 v3, 0
	s_delay_alu instid0(VALU_DEP_2) | instskip(NEXT) | instid1(VALU_DEP_1)
	v_lshrrev_b32_e32 v1, 16, v1
	v_add_nc_u32_e32 v5, s15, v1
	v_mov_b32_e32 v1, 0
	v_mov_b32_e32 v2, 0
	;; [unrolled: 1-line block ×3, first 2 shown]
	s_waitcnt lgkmcnt(0)
	v_cmp_lt_u64_e64 s2, s[10:11], 2
	s_delay_alu instid0(VALU_DEP_1)
	s_and_b32 vcc_lo, exec_lo, s2
	s_cbranch_vccnz .LBB0_8
; %bb.1:
	s_load_b64 s[2:3], s[0:1], 0x10
	v_mov_b32_e32 v1, 0
	v_mov_b32_e32 v2, 0
	s_add_u32 s12, s18, 8
	s_addc_u32 s13, s19, 0
	s_add_u32 s14, s16, 8
	s_addc_u32 s15, s17, 0
	v_dual_mov_b32 v81, v2 :: v_dual_mov_b32 v80, v1
	s_mov_b64 s[22:23], 1
	s_waitcnt lgkmcnt(0)
	s_add_u32 s20, s2, 8
	s_addc_u32 s21, s3, 0
.LBB0_2:                                ; =>This Inner Loop Header: Depth=1
	s_load_b64 s[24:25], s[20:21], 0x0
                                        ; implicit-def: $vgpr82_vgpr83
	s_mov_b32 s2, exec_lo
	s_waitcnt lgkmcnt(0)
	v_or_b32_e32 v4, s25, v6
	s_delay_alu instid0(VALU_DEP_1)
	v_cmpx_ne_u64_e32 0, v[3:4]
	s_xor_b32 s3, exec_lo, s2
	s_cbranch_execz .LBB0_4
; %bb.3:                                ;   in Loop: Header=BB0_2 Depth=1
	v_cvt_f32_u32_e32 v4, s24
	v_cvt_f32_u32_e32 v7, s25
	s_sub_u32 s2, 0, s24
	s_subb_u32 s26, 0, s25
	s_delay_alu instid0(VALU_DEP_1) | instskip(NEXT) | instid1(VALU_DEP_1)
	v_fmac_f32_e32 v4, 0x4f800000, v7
	v_rcp_f32_e32 v4, v4
	s_waitcnt_depctr 0xfff
	v_mul_f32_e32 v4, 0x5f7ffffc, v4
	s_delay_alu instid0(VALU_DEP_1) | instskip(NEXT) | instid1(VALU_DEP_1)
	v_mul_f32_e32 v7, 0x2f800000, v4
	v_trunc_f32_e32 v7, v7
	s_delay_alu instid0(VALU_DEP_1) | instskip(SKIP_1) | instid1(VALU_DEP_2)
	v_fmac_f32_e32 v4, 0xcf800000, v7
	v_cvt_u32_f32_e32 v7, v7
	v_cvt_u32_f32_e32 v4, v4
	s_delay_alu instid0(VALU_DEP_2) | instskip(NEXT) | instid1(VALU_DEP_2)
	v_mul_lo_u32 v8, s2, v7
	v_mul_hi_u32 v9, s2, v4
	v_mul_lo_u32 v10, s26, v4
	s_delay_alu instid0(VALU_DEP_2) | instskip(SKIP_1) | instid1(VALU_DEP_2)
	v_add_nc_u32_e32 v8, v9, v8
	v_mul_lo_u32 v9, s2, v4
	v_add_nc_u32_e32 v8, v8, v10
	s_delay_alu instid0(VALU_DEP_2) | instskip(NEXT) | instid1(VALU_DEP_2)
	v_mul_hi_u32 v10, v4, v9
	v_mul_lo_u32 v11, v4, v8
	v_mul_hi_u32 v12, v4, v8
	v_mul_hi_u32 v13, v7, v9
	v_mul_lo_u32 v9, v7, v9
	v_mul_hi_u32 v14, v7, v8
	v_mul_lo_u32 v8, v7, v8
	v_add_co_u32 v10, vcc_lo, v10, v11
	v_add_co_ci_u32_e32 v11, vcc_lo, 0, v12, vcc_lo
	s_delay_alu instid0(VALU_DEP_2) | instskip(NEXT) | instid1(VALU_DEP_2)
	v_add_co_u32 v9, vcc_lo, v10, v9
	v_add_co_ci_u32_e32 v9, vcc_lo, v11, v13, vcc_lo
	v_add_co_ci_u32_e32 v10, vcc_lo, 0, v14, vcc_lo
	s_delay_alu instid0(VALU_DEP_2) | instskip(NEXT) | instid1(VALU_DEP_2)
	v_add_co_u32 v8, vcc_lo, v9, v8
	v_add_co_ci_u32_e32 v9, vcc_lo, 0, v10, vcc_lo
	s_delay_alu instid0(VALU_DEP_2) | instskip(NEXT) | instid1(VALU_DEP_2)
	v_add_co_u32 v4, vcc_lo, v4, v8
	v_add_co_ci_u32_e32 v7, vcc_lo, v7, v9, vcc_lo
	s_delay_alu instid0(VALU_DEP_2) | instskip(SKIP_1) | instid1(VALU_DEP_3)
	v_mul_hi_u32 v8, s2, v4
	v_mul_lo_u32 v10, s26, v4
	v_mul_lo_u32 v9, s2, v7
	s_delay_alu instid0(VALU_DEP_1) | instskip(SKIP_1) | instid1(VALU_DEP_2)
	v_add_nc_u32_e32 v8, v8, v9
	v_mul_lo_u32 v9, s2, v4
	v_add_nc_u32_e32 v8, v8, v10
	s_delay_alu instid0(VALU_DEP_2) | instskip(NEXT) | instid1(VALU_DEP_2)
	v_mul_hi_u32 v10, v4, v9
	v_mul_lo_u32 v11, v4, v8
	v_mul_hi_u32 v12, v4, v8
	v_mul_hi_u32 v13, v7, v9
	v_mul_lo_u32 v9, v7, v9
	v_mul_hi_u32 v14, v7, v8
	v_mul_lo_u32 v8, v7, v8
	v_add_co_u32 v10, vcc_lo, v10, v11
	v_add_co_ci_u32_e32 v11, vcc_lo, 0, v12, vcc_lo
	s_delay_alu instid0(VALU_DEP_2) | instskip(NEXT) | instid1(VALU_DEP_2)
	v_add_co_u32 v9, vcc_lo, v10, v9
	v_add_co_ci_u32_e32 v9, vcc_lo, v11, v13, vcc_lo
	v_add_co_ci_u32_e32 v10, vcc_lo, 0, v14, vcc_lo
	s_delay_alu instid0(VALU_DEP_2) | instskip(NEXT) | instid1(VALU_DEP_2)
	v_add_co_u32 v8, vcc_lo, v9, v8
	v_add_co_ci_u32_e32 v9, vcc_lo, 0, v10, vcc_lo
	s_delay_alu instid0(VALU_DEP_2) | instskip(NEXT) | instid1(VALU_DEP_2)
	v_add_co_u32 v4, vcc_lo, v4, v8
	v_add_co_ci_u32_e32 v13, vcc_lo, v7, v9, vcc_lo
	s_delay_alu instid0(VALU_DEP_2) | instskip(SKIP_1) | instid1(VALU_DEP_3)
	v_mul_hi_u32 v14, v5, v4
	v_mad_u64_u32 v[9:10], null, v6, v4, 0
	v_mad_u64_u32 v[7:8], null, v5, v13, 0
	;; [unrolled: 1-line block ×3, first 2 shown]
	s_delay_alu instid0(VALU_DEP_2) | instskip(NEXT) | instid1(VALU_DEP_3)
	v_add_co_u32 v4, vcc_lo, v14, v7
	v_add_co_ci_u32_e32 v7, vcc_lo, 0, v8, vcc_lo
	s_delay_alu instid0(VALU_DEP_2) | instskip(NEXT) | instid1(VALU_DEP_2)
	v_add_co_u32 v4, vcc_lo, v4, v9
	v_add_co_ci_u32_e32 v4, vcc_lo, v7, v10, vcc_lo
	v_add_co_ci_u32_e32 v7, vcc_lo, 0, v12, vcc_lo
	s_delay_alu instid0(VALU_DEP_2) | instskip(NEXT) | instid1(VALU_DEP_2)
	v_add_co_u32 v4, vcc_lo, v4, v11
	v_add_co_ci_u32_e32 v9, vcc_lo, 0, v7, vcc_lo
	s_delay_alu instid0(VALU_DEP_2) | instskip(SKIP_1) | instid1(VALU_DEP_3)
	v_mul_lo_u32 v10, s25, v4
	v_mad_u64_u32 v[7:8], null, s24, v4, 0
	v_mul_lo_u32 v11, s24, v9
	s_delay_alu instid0(VALU_DEP_2) | instskip(NEXT) | instid1(VALU_DEP_2)
	v_sub_co_u32 v7, vcc_lo, v5, v7
	v_add3_u32 v8, v8, v11, v10
	s_delay_alu instid0(VALU_DEP_1) | instskip(NEXT) | instid1(VALU_DEP_1)
	v_sub_nc_u32_e32 v10, v6, v8
	v_subrev_co_ci_u32_e64 v10, s2, s25, v10, vcc_lo
	v_add_co_u32 v11, s2, v4, 2
	s_delay_alu instid0(VALU_DEP_1) | instskip(SKIP_3) | instid1(VALU_DEP_3)
	v_add_co_ci_u32_e64 v12, s2, 0, v9, s2
	v_sub_co_u32 v13, s2, v7, s24
	v_sub_co_ci_u32_e32 v8, vcc_lo, v6, v8, vcc_lo
	v_subrev_co_ci_u32_e64 v10, s2, 0, v10, s2
	v_cmp_le_u32_e32 vcc_lo, s24, v13
	s_delay_alu instid0(VALU_DEP_3) | instskip(SKIP_1) | instid1(VALU_DEP_4)
	v_cmp_eq_u32_e64 s2, s25, v8
	v_cndmask_b32_e64 v13, 0, -1, vcc_lo
	v_cmp_le_u32_e32 vcc_lo, s25, v10
	v_cndmask_b32_e64 v14, 0, -1, vcc_lo
	v_cmp_le_u32_e32 vcc_lo, s24, v7
	;; [unrolled: 2-line block ×3, first 2 shown]
	v_cndmask_b32_e64 v15, 0, -1, vcc_lo
	v_cmp_eq_u32_e32 vcc_lo, s25, v10
	s_delay_alu instid0(VALU_DEP_2) | instskip(SKIP_3) | instid1(VALU_DEP_3)
	v_cndmask_b32_e64 v7, v15, v7, s2
	v_cndmask_b32_e32 v10, v14, v13, vcc_lo
	v_add_co_u32 v13, vcc_lo, v4, 1
	v_add_co_ci_u32_e32 v14, vcc_lo, 0, v9, vcc_lo
	v_cmp_ne_u32_e32 vcc_lo, 0, v10
	s_delay_alu instid0(VALU_DEP_2) | instskip(NEXT) | instid1(VALU_DEP_4)
	v_cndmask_b32_e32 v8, v14, v12, vcc_lo
	v_cndmask_b32_e32 v10, v13, v11, vcc_lo
	v_cmp_ne_u32_e32 vcc_lo, 0, v7
	s_delay_alu instid0(VALU_DEP_2)
	v_dual_cndmask_b32 v83, v9, v8 :: v_dual_cndmask_b32 v82, v4, v10
.LBB0_4:                                ;   in Loop: Header=BB0_2 Depth=1
	s_and_not1_saveexec_b32 s2, s3
	s_cbranch_execz .LBB0_6
; %bb.5:                                ;   in Loop: Header=BB0_2 Depth=1
	v_cvt_f32_u32_e32 v4, s24
	s_sub_i32 s3, 0, s24
	v_mov_b32_e32 v83, v3
	s_delay_alu instid0(VALU_DEP_2) | instskip(SKIP_2) | instid1(VALU_DEP_1)
	v_rcp_iflag_f32_e32 v4, v4
	s_waitcnt_depctr 0xfff
	v_mul_f32_e32 v4, 0x4f7ffffe, v4
	v_cvt_u32_f32_e32 v4, v4
	s_delay_alu instid0(VALU_DEP_1) | instskip(NEXT) | instid1(VALU_DEP_1)
	v_mul_lo_u32 v7, s3, v4
	v_mul_hi_u32 v7, v4, v7
	s_delay_alu instid0(VALU_DEP_1) | instskip(NEXT) | instid1(VALU_DEP_1)
	v_add_nc_u32_e32 v4, v4, v7
	v_mul_hi_u32 v4, v5, v4
	s_delay_alu instid0(VALU_DEP_1) | instskip(SKIP_1) | instid1(VALU_DEP_2)
	v_mul_lo_u32 v7, v4, s24
	v_add_nc_u32_e32 v8, 1, v4
	v_sub_nc_u32_e32 v7, v5, v7
	s_delay_alu instid0(VALU_DEP_1) | instskip(SKIP_1) | instid1(VALU_DEP_2)
	v_subrev_nc_u32_e32 v9, s24, v7
	v_cmp_le_u32_e32 vcc_lo, s24, v7
	v_dual_cndmask_b32 v7, v7, v9 :: v_dual_cndmask_b32 v4, v4, v8
	s_delay_alu instid0(VALU_DEP_1) | instskip(NEXT) | instid1(VALU_DEP_2)
	v_cmp_le_u32_e32 vcc_lo, s24, v7
	v_add_nc_u32_e32 v8, 1, v4
	s_delay_alu instid0(VALU_DEP_1)
	v_cndmask_b32_e32 v82, v4, v8, vcc_lo
.LBB0_6:                                ;   in Loop: Header=BB0_2 Depth=1
	s_or_b32 exec_lo, exec_lo, s2
	s_delay_alu instid0(VALU_DEP_1) | instskip(NEXT) | instid1(VALU_DEP_2)
	v_mul_lo_u32 v4, v83, s24
	v_mul_lo_u32 v9, v82, s25
	s_load_b64 s[2:3], s[14:15], 0x0
	v_mad_u64_u32 v[7:8], null, v82, s24, 0
	s_load_b64 s[24:25], s[12:13], 0x0
	s_add_u32 s22, s22, 1
	s_addc_u32 s23, s23, 0
	s_add_u32 s12, s12, 8
	s_addc_u32 s13, s13, 0
	s_add_u32 s14, s14, 8
	s_delay_alu instid0(VALU_DEP_1) | instskip(SKIP_3) | instid1(VALU_DEP_2)
	v_add3_u32 v4, v8, v9, v4
	v_sub_co_u32 v8, vcc_lo, v5, v7
	s_addc_u32 s15, s15, 0
	s_add_u32 s20, s20, 8
	v_sub_co_ci_u32_e32 v6, vcc_lo, v6, v4, vcc_lo
	s_addc_u32 s21, s21, 0
	s_waitcnt lgkmcnt(0)
	s_delay_alu instid0(VALU_DEP_1)
	v_mul_lo_u32 v9, s2, v6
	v_mul_lo_u32 v10, s3, v8
	v_mad_u64_u32 v[4:5], null, s2, v8, v[1:2]
	v_mul_lo_u32 v11, s24, v6
	v_mul_lo_u32 v12, s25, v8
	v_mad_u64_u32 v[6:7], null, s24, v8, v[80:81]
	v_cmp_ge_u64_e64 s2, s[22:23], s[10:11]
	v_add3_u32 v2, v10, v5, v9
	s_delay_alu instid0(VALU_DEP_3) | instskip(NEXT) | instid1(VALU_DEP_4)
	v_dual_mov_b32 v1, v4 :: v_dual_mov_b32 v80, v6
	v_add3_u32 v81, v12, v7, v11
	s_delay_alu instid0(VALU_DEP_4)
	s_and_b32 vcc_lo, exec_lo, s2
	s_cbranch_vccnz .LBB0_9
; %bb.7:                                ;   in Loop: Header=BB0_2 Depth=1
	v_dual_mov_b32 v5, v82 :: v_dual_mov_b32 v6, v83
	s_branch .LBB0_2
.LBB0_8:
	v_dual_mov_b32 v81, v2 :: v_dual_mov_b32 v80, v1
	v_dual_mov_b32 v83, v6 :: v_dual_mov_b32 v82, v5
.LBB0_9:
	s_load_b64 s[0:1], s[0:1], 0x28
	v_mul_hi_u32 v3, 0x2082083, v0
	s_lshl_b64 s[10:11], s[10:11], 3
                                        ; implicit-def: $vgpr98
	s_delay_alu instid0(SALU_CYCLE_1) | instskip(SKIP_4) | instid1(VALU_DEP_1)
	s_add_u32 s2, s18, s10
	s_addc_u32 s3, s19, s11
	s_waitcnt lgkmcnt(0)
	v_cmp_gt_u64_e32 vcc_lo, s[0:1], v[82:83]
	v_cmp_le_u64_e64 s0, s[0:1], v[82:83]
	s_and_saveexec_b32 s1, s0
	s_delay_alu instid0(SALU_CYCLE_1)
	s_xor_b32 s0, exec_lo, s1
; %bb.10:
	v_mul_u32_u24_e32 v1, 0x7e, v3
                                        ; implicit-def: $vgpr3
	s_delay_alu instid0(VALU_DEP_1)
	v_sub_nc_u32_e32 v98, v0, v1
                                        ; implicit-def: $vgpr0
                                        ; implicit-def: $vgpr1_vgpr2
; %bb.11:
	s_or_saveexec_b32 s1, s0
	s_load_b64 s[2:3], s[2:3], 0x0
                                        ; implicit-def: $vgpr56_vgpr57
                                        ; implicit-def: $vgpr20_vgpr21
                                        ; implicit-def: $vgpr36_vgpr37
                                        ; implicit-def: $vgpr32_vgpr33
                                        ; implicit-def: $vgpr44_vgpr45
                                        ; implicit-def: $vgpr16_vgpr17
                                        ; implicit-def: $vgpr40_vgpr41
                                        ; implicit-def: $vgpr12_vgpr13
                                        ; implicit-def: $vgpr48_vgpr49
                                        ; implicit-def: $vgpr28_vgpr29
                                        ; implicit-def: $vgpr52_vgpr53
                                        ; implicit-def: $vgpr24_vgpr25
                                        ; implicit-def: $vgpr60_vgpr61
                                        ; implicit-def: $vgpr8_vgpr9
                                        ; implicit-def: $vgpr64_vgpr65
                                        ; implicit-def: $vgpr4_vgpr5
	s_xor_b32 exec_lo, exec_lo, s1
	s_cbranch_execz .LBB0_15
; %bb.12:
	s_add_u32 s10, s16, s10
	s_addc_u32 s11, s17, s11
	v_lshlrev_b64 v[1:2], 4, v[1:2]
	s_load_b64 s[10:11], s[10:11], 0x0
                                        ; implicit-def: $vgpr54_vgpr55
	s_waitcnt lgkmcnt(0)
	v_mul_lo_u32 v6, s11, v82
	v_mul_lo_u32 v7, s10, v83
	v_mad_u64_u32 v[4:5], null, s10, v82, 0
	s_delay_alu instid0(VALU_DEP_1) | instskip(SKIP_1) | instid1(VALU_DEP_2)
	v_add3_u32 v5, v5, v7, v6
	v_mul_u32_u24_e32 v6, 0x7e, v3
	v_lshlrev_b64 v[3:4], 4, v[4:5]
	s_delay_alu instid0(VALU_DEP_2) | instskip(NEXT) | instid1(VALU_DEP_2)
	v_sub_nc_u32_e32 v98, v0, v6
	v_add_co_u32 v0, s0, s4, v3
	s_delay_alu instid0(VALU_DEP_1) | instskip(NEXT) | instid1(VALU_DEP_3)
	v_add_co_ci_u32_e64 v3, s0, s5, v4, s0
	v_lshlrev_b32_e32 v4, 4, v98
	s_delay_alu instid0(VALU_DEP_3) | instskip(NEXT) | instid1(VALU_DEP_1)
	v_add_co_u32 v0, s0, v0, v1
	v_add_co_ci_u32_e64 v1, s0, v3, v2, s0
	s_mov_b32 s4, exec_lo
	s_delay_alu instid0(VALU_DEP_2) | instskip(NEXT) | instid1(VALU_DEP_1)
	v_add_co_u32 v0, s0, v0, v4
	v_add_co_ci_u32_e64 v1, s0, 0, v1, s0
	s_clause 0x1
	global_load_b128 v[2:5], v[0:1], off
	global_load_b128 v[6:9], v[0:1], off offset:2016
	v_add_co_u32 v20, s0, 0x3000, v0
	s_delay_alu instid0(VALU_DEP_1) | instskip(SKIP_1) | instid1(VALU_DEP_1)
	v_add_co_ci_u32_e64 v21, s0, 0, v1, s0
	v_add_co_u32 v10, s0, 0x4000, v0
	v_add_co_ci_u32_e64 v11, s0, 0, v1, s0
	v_add_co_u32 v12, s0, 0x1000, v0
	s_delay_alu instid0(VALU_DEP_1) | instskip(SKIP_1) | instid1(VALU_DEP_1)
	v_add_co_ci_u32_e64 v13, s0, 0, v1, s0
	v_add_co_u32 v14, s0, 0x5000, v0
	v_add_co_ci_u32_e64 v15, s0, 0, v1, s0
	;; [unrolled: 5-line block ×3, first 2 shown]
	s_clause 0xb
	global_load_b128 v[62:65], v[20:21], off offset:2832
	global_load_b128 v[22:25], v[0:1], off offset:4032
	;; [unrolled: 1-line block ×12, first 2 shown]
                                        ; implicit-def: $vgpr18_vgpr19
	v_cmpx_gt_u32_e32 63, v98
; %bb.13:
	v_add_co_u32 v0, s0, 0x7000, v0
	s_delay_alu instid0(VALU_DEP_1)
	v_add_co_ci_u32_e64 v1, s0, 0, v1, s0
	s_clause 0x1
	global_load_b128 v[18:21], v[20:21], off offset:1824
	global_load_b128 v[54:57], v[0:1], off offset:560
; %bb.14:
	s_or_b32 exec_lo, exec_lo, s4
.LBB0_15:
	s_delay_alu instid0(SALU_CYCLE_1)
	s_or_b32 exec_lo, exec_lo, s1
	s_waitcnt vmcnt(8)
	v_add_f64 v[68:69], v[22:23], -v[50:51]
	v_add_f64 v[86:87], v[2:3], -v[62:63]
	s_waitcnt vmcnt(5)
	v_add_f64 v[74:75], v[26:27], -v[46:47]
	s_waitcnt vmcnt(4)
	;; [unrolled: 2-line block ×3, first 2 shown]
	v_add_f64 v[90:91], v[14:15], -v[42:43]
	v_add_f64 v[94:95], v[6:7], -v[58:59]
	s_waitcnt vmcnt(0)
	v_add_f64 v[104:105], v[30:31], -v[34:35]
	v_add_nc_u32_e32 v101, 0xfc, v98
	v_add_nc_u32_e32 v70, 0x17a, v98
	;; [unrolled: 1-line block ×5, first 2 shown]
	v_cmp_gt_u32_e64 s0, 63, v98
	v_lshl_add_u32 v34, v101, 4, 0
	s_delay_alu instid0(VALU_DEP_4)
	v_lshl_add_u32 v35, v100, 4, 0
	v_fma_f64 v[66:67], v[22:23], 2.0, -v[68:69]
	v_fma_f64 v[84:85], v[2:3], 2.0, -v[86:87]
	v_add_f64 v[2:3], v[18:19], -v[54:55]
	v_fma_f64 v[72:73], v[26:27], 2.0, -v[74:75]
	v_fma_f64 v[76:77], v[10:11], 2.0, -v[78:79]
	v_fma_f64 v[88:89], v[14:15], 2.0, -v[90:91]
	v_fma_f64 v[92:93], v[6:7], 2.0, -v[94:95]
	v_fma_f64 v[102:103], v[30:31], 2.0, -v[104:105]
	v_lshl_add_u32 v30, v98, 4, 0
	v_lshl_add_u32 v31, v70, 4, 0
	;; [unrolled: 1-line block ×4, first 2 shown]
	ds_store_b128 v34, v[66:69]
	ds_store_b128 v31, v[72:75]
	;; [unrolled: 1-line block ×4, first 2 shown]
	ds_store_b128 v30, v[88:91] offset:10080
	ds_store_b128 v35, v[92:95]
	ds_store_b128 v30, v[102:105] offset:12096
	v_add_nc_u32_e32 v26, 0x2760, v30
	v_add_nc_u32_e32 v23, 0x2f40, v30
	s_and_saveexec_b32 s1, s0
	s_cbranch_execz .LBB0_17
; %bb.16:
	v_fma_f64 v[0:1], v[18:19], 2.0, -v[2:3]
	ds_store_b128 v22, v[0:3]
.LBB0_17:
	s_or_b32 exec_lo, exec_lo, s1
	v_add_f64 v[38:39], v[4:5], -v[64:65]
	v_add_f64 v[42:43], v[8:9], -v[60:61]
	;; [unrolled: 1-line block ×8, first 2 shown]
	v_lshl_add_u32 v99, v98, 3, 0
	s_waitcnt lgkmcnt(0)
	s_barrier
	buffer_gl0_inv
	v_add_nc_u32_e32 v64, 0xc00, v99
	v_add_nc_u32_e32 v69, 0x2400, v99
	;; [unrolled: 1-line block ×6, first 2 shown]
	v_fma_f64 v[36:37], v[4:5], 2.0, -v[38:39]
	v_fma_f64 v[40:41], v[8:9], 2.0, -v[42:43]
	;; [unrolled: 1-line block ×7, first 2 shown]
	ds_load_2addr_b64 v[8:11], v99 offset1:126
	ds_load_b64 v[0:1], v99 offset:14112
	ds_load_2addr_b64 v[12:15], v64 offset0:120 offset1:246
	ds_load_2addr_b64 v[60:63], v69 offset0:108 offset1:234
	;; [unrolled: 1-line block ×6, first 2 shown]
	s_waitcnt lgkmcnt(0)
	s_barrier
	buffer_gl0_inv
	ds_store_b128 v30, v[36:39]
	ds_store_b128 v35, v[40:43]
	;; [unrolled: 1-line block ×7, first 2 shown]
	s_and_saveexec_b32 s1, s0
	s_cbranch_execz .LBB0_19
; %bb.18:
	v_fma_f64 v[4:5], v[20:21], 2.0, -v[6:7]
	ds_store_b128 v22, v[4:7]
.LBB0_19:
	s_or_b32 exec_lo, exec_lo, s1
	v_and_b32_e32 v72, 1, v98
	s_waitcnt lgkmcnt(0)
	s_barrier
	buffer_gl0_inv
	v_lshrrev_b32_e32 v79, 1, v100
	v_lshlrev_b32_e32 v4, 5, v72
	s_mov_b32 s4, 0xe8584caa
	s_mov_b32 s5, 0xbfebb67a
	;; [unrolled: 1-line block ×4, first 2 shown]
	s_clause 0x1
	global_load_b128 v[24:27], v4, s[8:9] offset:16
	global_load_b128 v[28:31], v4, s[8:9]
	ds_load_2addr_b64 v[32:35], v69 offset0:108 offset1:234
	ds_load_2addr_b64 v[20:23], v64 offset0:120 offset1:246
	;; [unrolled: 1-line block ×5, first 2 shown]
	ds_load_b64 v[77:78], v99 offset:14112
	ds_load_2addr_b64 v[73:76], v99 offset1:126
	v_cmp_gt_u32_e64 s0, 18, v98
	s_waitcnt vmcnt(1) lgkmcnt(6)
	v_mul_f64 v[86:87], v[34:35], v[26:27]
	s_waitcnt vmcnt(0) lgkmcnt(5)
	v_mul_f64 v[84:85], v[22:23], v[30:31]
	s_waitcnt lgkmcnt(4)
	v_mul_f64 v[88:89], v[44:45], v[30:31]
	v_mul_f64 v[90:91], v[46:47], v[30:31]
	s_waitcnt lgkmcnt(3)
	v_mul_f64 v[92:93], v[40:41], v[26:27]
	;; [unrolled: 3-line block ×3, first 2 shown]
	v_mul_f64 v[4:5], v[32:33], v[26:27]
	v_mul_f64 v[106:107], v[60:61], v[26:27]
	;; [unrolled: 1-line block ×8, first 2 shown]
	s_waitcnt lgkmcnt(1)
	v_mul_f64 v[104:105], v[77:78], v[26:27]
	v_mul_f64 v[118:119], v[48:49], v[30:31]
	;; [unrolled: 1-line block ×5, first 2 shown]
	v_fma_f64 v[62:63], v[62:63], v[24:25], v[86:87]
	v_fma_f64 v[14:15], v[14:15], v[28:29], v[84:85]
	;; [unrolled: 1-line block ×8, first 2 shown]
	v_fma_f64 v[90:91], v[32:33], v[24:25], -v[106:107]
	v_fma_f64 v[22:23], v[22:23], v[28:29], -v[108:109]
	;; [unrolled: 1-line block ×6, first 2 shown]
	v_fma_f64 v[86:87], v[50:51], v[28:29], v[102:103]
	v_fma_f64 v[88:89], v[0:1], v[24:25], v[104:105]
	v_fma_f64 v[35:36], v[36:37], v[28:29], -v[118:119]
	v_fma_f64 v[42:43], v[42:43], v[24:25], -v[120:121]
	v_fma_f64 v[28:29], v[38:39], v[28:29], -v[30:31]
	v_fma_f64 v[37:38], v[77:78], v[24:25], -v[26:27]
	v_lshrrev_b32_e32 v5, 1, v98
	v_lshrrev_b32_e32 v92, 1, v101
	v_and_b32_e32 v0, 0xffff, v70
	v_and_b32_e32 v4, 0xffff, v71
	v_lshrrev_b32_e32 v93, 1, v70
	v_lshrrev_b32_e32 v94, 1, v71
	v_mul_u32_u24_e32 v24, 6, v5
	v_mul_u32_u24_e32 v25, 6, v79
	;; [unrolled: 1-line block ×7, first 2 shown]
	v_or_b32_e32 v108, v24, v72
	v_or_b32_e32 v110, v25, v72
	v_or_b32_e32 v126, v26, v72
	v_lshrrev_b32_e32 v25, 18, v104
	v_lshrrev_b32_e32 v26, 18, v105
	v_lshl_add_u32 v128, v108, 3, 0
	v_lshl_add_u32 v129, v110, 3, 0
	v_add_f64 v[77:78], v[52:53], v[62:63]
	ds_load_2addr_b64 v[48:51], v66 offset0:124 offset1:250
	v_add_f64 v[92:93], v[54:55], v[56:57]
	v_add_f64 v[116:117], v[10:11], v[52:53]
	;; [unrolled: 1-line block ×8, first 2 shown]
	v_or_b32_e32 v127, v27, v72
	v_add_f64 v[108:109], v[46:47], v[40:41]
	v_or_b32_e32 v32, v32, v72
	v_add_f64 v[96:97], v[86:87], v[88:89]
	v_add_f64 v[112:113], v[8:9], v[14:15]
	;; [unrolled: 1-line block ×3, first 2 shown]
	v_add_f64 v[124:125], v[22:23], -v[90:91]
	v_add_f64 v[114:115], v[28:29], v[37:38]
	s_waitcnt lgkmcnt(1)
	v_add_f64 v[22:23], v[73:74], v[22:23]
	v_add_f64 v[14:15], v[14:15], -v[60:61]
	v_add_f64 v[52:53], v[52:53], -v[62:63]
	;; [unrolled: 1-line block ×3, first 2 shown]
	v_add_f64 v[122:123], v[12:13], v[86:87]
	v_add_f64 v[84:85], v[84:85], -v[58:59]
	v_add_f64 v[86:87], v[86:87], -v[88:89]
	v_and_b32_e32 v103, 0xff, v100
	v_lshl_add_u32 v130, v32, 3, 0
	v_mul_lo_u16 v133, v26, 6
	v_and_b32_e32 v1, 0xffff, v101
	v_and_b32_e32 v102, 0xff, v98
	v_mul_lo_u16 v39, 0xab, v103
	v_mul_lo_u16 v132, v25, 6
	v_lshl_add_u32 v126, v126, 3, 0
	v_mul_u32_u24_e32 v79, 0xaaab, v1
	v_mul_lo_u16 v5, 0xab, v102
	v_lshrrev_b16 v27, 10, v39
	s_waitcnt lgkmcnt(0)
	s_barrier
	v_fma_f64 v[10:11], v[77:78], -0.5, v[10:11]
	v_add_f64 v[77:78], v[46:47], -v[40:41]
	v_fma_f64 v[16:17], v[92:93], -0.5, v[16:17]
	v_add_f64 v[92:93], v[35:36], -v[42:43]
	v_fma_f64 v[18:19], v[94:95], -0.5, v[18:19]
	v_fma_f64 v[8:9], v[30:31], -0.5, v[8:9]
	v_add_f64 v[30:31], v[44:45], -v[33:34]
	v_fma_f64 v[72:73], v[104:105], -0.5, v[73:74]
	v_add_f64 v[44:45], v[75:76], v[44:45]
	v_fma_f64 v[74:75], v[106:107], -0.5, v[75:76]
	v_add_f64 v[46:47], v[48:49], v[46:47]
	v_fma_f64 v[48:49], v[108:109], -0.5, v[48:49]
	v_add_f64 v[94:95], v[28:29], -v[37:38]
	v_fma_f64 v[12:13], v[96:97], -0.5, v[12:13]
	v_add_f64 v[35:36], v[50:51], v[35:36]
	v_fma_f64 v[50:51], v[110:111], -0.5, v[50:51]
	v_add_f64 v[96:97], v[20:21], v[28:29]
	v_fma_f64 v[20:21], v[114:115], -0.5, v[20:21]
	v_mul_lo_u16 v32, v27, 6
	v_add_f64 v[60:61], v[112:113], v[60:61]
	v_add_f64 v[22:23], v[22:23], v[90:91]
	;; [unrolled: 1-line block ×4, first 2 shown]
	v_sub_nc_u16 v32, v100, v32
	v_lshrrev_b32_e32 v24, 18, v79
	v_add_f64 v[58:59], v[120:121], v[58:59]
	v_add_f64 v[88:89], v[122:123], v[88:89]
	v_lshrrev_b16 v5, 10, v5
	v_and_b32_e32 v29, 0xff, v32
	v_mul_lo_u16 v131, v24, 6
	buffer_gl0_inv
	v_lshl_add_u32 v127, v127, 3, 0
	v_mul_lo_u16 v39, v5, 6
	v_mul_u32_u24_e32 v4, 0xe38f, v4
	v_mul_u32_u24_e32 v1, 0xe38f, v1
	s_delay_alu instid0(VALU_DEP_3)
	v_sub_nc_u16 v39, v98, v39
	v_fma_f64 v[108:109], v[77:78], s[4:5], v[16:17]
	v_fma_f64 v[16:17], v[77:78], s[10:11], v[16:17]
	;; [unrolled: 1-line block ×4, first 2 shown]
	v_sub_nc_u16 v92, v71, v133
	v_fma_f64 v[104:105], v[124:125], s[4:5], v[8:9]
	v_fma_f64 v[110:111], v[14:15], s[10:11], v[72:73]
	;; [unrolled: 1-line block ×5, first 2 shown]
	v_add_f64 v[90:91], v[44:45], v[33:34]
	v_fma_f64 v[112:113], v[52:53], s[10:11], v[74:75]
	v_fma_f64 v[10:11], v[30:31], s[10:11], v[10:11]
	;; [unrolled: 1-line block ×3, first 2 shown]
	v_and_b32_e32 v32, 0xffff, v92
	v_add_f64 v[92:93], v[46:47], v[40:41]
	v_fma_f64 v[74:75], v[54:55], s[10:11], v[48:49]
	v_fma_f64 v[54:55], v[54:55], s[4:5], v[48:49]
	;; [unrolled: 1-line block ×4, first 2 shown]
	v_add_f64 v[94:95], v[35:36], v[42:43]
	v_fma_f64 v[114:115], v[84:85], s[10:11], v[50:51]
	v_fma_f64 v[49:50], v[84:85], s[4:5], v[50:51]
	v_add_f64 v[96:97], v[96:97], v[37:38]
	v_fma_f64 v[84:85], v[86:87], s[10:11], v[20:21]
	v_fma_f64 v[20:21], v[86:87], s[4:5], v[20:21]
	v_sub_nc_u16 v30, v101, v131
	v_sub_nc_u16 v31, v70, v132
	v_and_b32_e32 v28, 0xff, v39
	v_lshlrev_b32_e32 v86, 5, v29
	v_lshlrev_b32_e32 v118, 5, v32
	v_and_b32_e32 v30, 0xffff, v30
	v_and_b32_e32 v31, 0xffff, v31
	v_lshlrev_b32_e32 v116, 5, v28
	ds_store_2addr_b64 v128, v[60:61], v[104:105] offset1:2
	ds_store_b64 v128, v[8:9] offset:32
	ds_store_2addr_b64 v129, v[62:63], v[106:107] offset1:2
	ds_store_b64 v129, v[10:11] offset:32
	;; [unrolled: 2-line block ×5, first 2 shown]
	v_lshlrev_b32_e32 v87, 5, v30
	v_lshlrev_b32_e32 v117, 5, v31
	s_waitcnt lgkmcnt(0)
	s_barrier
	buffer_gl0_inv
	ds_load_2addr_b64 v[12:15], v99 offset1:126
	ds_load_2addr_b64 v[8:11], v64 offset0:120 offset1:246
	ds_load_2addr_b64 v[33:36], v69 offset0:108 offset1:234
	;; [unrolled: 1-line block ×6, first 2 shown]
	ds_load_b64 v[61:62], v99 offset:14112
	s_waitcnt lgkmcnt(0)
	s_barrier
	buffer_gl0_inv
	ds_store_2addr_b64 v128, v[22:23], v[110:111] offset1:2
	ds_store_b64 v128, v[72:73] offset:32
	ds_store_2addr_b64 v129, v[90:91], v[112:113] offset1:2
	ds_store_b64 v129, v[52:53] offset:32
	;; [unrolled: 2-line block ×5, first 2 shown]
	s_waitcnt lgkmcnt(0)
	s_barrier
	buffer_gl0_inv
	s_clause 0x9
	global_load_b128 v[49:52], v116, s[8:9] offset:80
	global_load_b128 v[53:56], v116, s[8:9] offset:64
	global_load_b128 v[57:60], v86, s[8:9] offset:80
	global_load_b128 v[72:75], v86, s[8:9] offset:64
	global_load_b128 v[76:79], v87, s[8:9] offset:64
	global_load_b128 v[84:87], v87, s[8:9] offset:80
	global_load_b128 v[88:91], v117, s[8:9] offset:80
	global_load_b128 v[92:95], v117, s[8:9] offset:64
	global_load_b128 v[104:107], v118, s[8:9] offset:64
	global_load_b128 v[108:111], v118, s[8:9] offset:80
	ds_load_2addr_b64 v[112:115], v69 offset0:108 offset1:234
	ds_load_2addr_b64 v[20:23], v64 offset0:120 offset1:246
	;; [unrolled: 1-line block ×5, first 2 shown]
	ds_load_b64 v[96:97], v99 offset:14112
	v_mul_u32_u24_e32 v63, 0x90, v24
	s_waitcnt vmcnt(9) lgkmcnt(5)
	v_mul_f64 v[128:129], v[112:113], v[51:52]
	s_waitcnt vmcnt(8) lgkmcnt(4)
	v_mul_f64 v[130:131], v[22:23], v[55:56]
	v_mul_f64 v[51:52], v[33:34], v[51:52]
	;; [unrolled: 1-line block ×3, first 2 shown]
	s_waitcnt vmcnt(7)
	v_mul_f64 v[132:133], v[114:115], v[59:60]
	s_waitcnt vmcnt(6) lgkmcnt(3)
	v_mul_f64 v[134:135], v[116:117], v[74:75]
	v_mul_f64 v[59:60], v[35:36], v[59:60]
	v_mul_f64 v[74:75], v[37:38], v[74:75]
	s_waitcnt vmcnt(1) lgkmcnt(1)
	v_mul_f64 v[144:145], v[126:127], v[106:107]
	s_waitcnt vmcnt(0) lgkmcnt(0)
	v_mul_f64 v[146:147], v[96:97], v[110:111]
	v_mul_f64 v[136:137], v[118:119], v[78:79]
	;; [unrolled: 1-line block ×11, first 2 shown]
	v_fma_f64 v[128:129], v[33:34], v[49:50], v[128:129]
	v_fma_f64 v[10:11], v[10:11], v[53:54], v[130:131]
	v_fma_f64 v[49:50], v[112:113], v[49:50], -v[51:52]
	v_fma_f64 v[51:52], v[22:23], v[53:54], -v[55:56]
	v_fma_f64 v[130:131], v[35:36], v[57:58], v[132:133]
	v_fma_f64 v[37:38], v[37:38], v[72:73], v[134:135]
	v_fma_f64 v[53:54], v[114:115], v[57:58], -v[59:60]
	v_fma_f64 v[55:56], v[116:117], v[72:73], -v[74:75]
	v_fma_f64 v[47:48], v[47:48], v[104:105], v[144:145]
	v_fma_f64 v[61:62], v[61:62], v[108:109], v[146:147]
	;; [unrolled: 1-line block ×4, first 2 shown]
	v_fma_f64 v[57:58], v[118:119], v[76:77], -v[78:79]
	v_fma_f64 v[59:60], v[120:121], v[84:85], -v[86:87]
	v_fma_f64 v[43:44], v[43:44], v[88:89], v[140:141]
	v_fma_f64 v[45:46], v[45:46], v[92:93], v[142:143]
	v_fma_f64 v[72:73], v[122:123], v[88:89], -v[90:91]
	v_fma_f64 v[74:75], v[124:125], v[92:93], -v[94:95]
	;; [unrolled: 1-line block ×4, first 2 shown]
	v_mul_lo_u16 v33, v102, 57
	v_mul_u32_u24_e32 v22, 0xe38f, v0
	v_lshrrev_b32_e32 v140, 20, v4
	v_and_b32_e32 v23, 0xffff, v27
	v_mul_u32_u24_e32 v115, 0x90, v26
	v_lshrrev_b16 v136, 10, v33
	v_lshrrev_b32_e32 v139, 20, v22
	v_and_b32_e32 v22, 0xffff, v5
	v_mul_lo_u16 v33, v140, 18
	v_lshrrev_b32_e32 v138, 20, v1
	v_mul_lo_u16 v27, v136, 18
	v_mul_lo_u16 v26, v139, 18
	v_mul_u32_u24_e32 v116, 0x90, v22
	v_sub_nc_u16 v121, v71, v33
	v_mul_lo_u16 v34, v103, 57
	v_sub_nc_u16 v22, v98, v27
	v_sub_nc_u16 v120, v70, v26
	v_mul_u32_u24_e32 v114, 0x90, v25
	v_mul_lo_u16 v25, v138, 18
	v_add_f64 v[0:1], v[10:11], v[128:129]
	v_lshrrev_b16 v137, 10, v34
	v_add_f64 v[26:27], v[51:52], v[49:50]
	v_mul_u32_u24_e32 v117, 0x90, v23
	v_add_f64 v[84:85], v[37:38], v[130:131]
	v_sub_nc_u16 v119, v101, v25
	v_add_f64 v[70:71], v[55:56], v[53:54]
	v_mul_lo_u16 v24, v137, 18
	v_add_f64 v[88:89], v[47:48], v[61:62]
	v_and_b32_e32 v141, 0xff, v22
	v_add_f64 v[86:87], v[39:40], v[41:42]
	ds_load_2addr_b64 v[33:36], v66 offset0:124 offset1:250
	v_add_f64 v[90:91], v[57:58], v[59:60]
	v_sub_nc_u16 v118, v100, v24
	v_add_f64 v[4:5], v[45:46], v[43:44]
	ds_load_2addr_b64 v[22:25], v99 offset1:126
	v_add_f64 v[92:93], v[74:75], v[72:73]
	v_add_f64 v[94:95], v[12:13], v[10:11]
	;; [unrolled: 1-line block ×4, first 2 shown]
	v_add_f64 v[112:113], v[51:52], -v[49:50]
	v_add_f64 v[10:11], v[10:11], -v[128:129]
	v_add_f64 v[104:105], v[14:15], v[37:38]
	v_and_b32_e32 v142, 0xff, v118
	v_and_b32_e32 v143, 0xffff, v119
	v_lshlrev_b32_e32 v118, 3, v30
	v_lshlrev_b32_e32 v119, 3, v31
	v_add_f64 v[106:107], v[16:17], v[39:40]
	v_add_f64 v[108:109], v[18:19], v[45:46]
	v_and_b32_e32 v144, 0xffff, v120
	v_lshlrev_b32_e32 v120, 3, v32
	v_and_b32_e32 v145, 0xffff, v121
	v_add3_u32 v63, 0, v63, v118
	s_waitcnt lgkmcnt(0)
	s_barrier
	v_add_f64 v[30:31], v[24:25], v[55:56]
	v_lshlrev_b32_e32 v121, 5, v145
	buffer_gl0_inv
	v_fma_f64 v[0:1], v[0:1], -0.5, v[12:13]
	v_add_f64 v[12:13], v[55:56], -v[53:54]
	v_add_f64 v[55:56], v[35:36], v[74:75]
	v_fma_f64 v[14:15], v[84:85], -0.5, v[14:15]
	v_add_f64 v[84:85], v[57:58], -v[59:60]
	v_fma_f64 v[24:25], v[70:71], -0.5, v[24:25]
	v_fma_f64 v[8:9], v[88:89], -0.5, v[8:9]
	v_lshlrev_b32_e32 v88, 3, v28
	v_lshlrev_b32_e32 v89, 3, v29
	v_add_f64 v[28:29], v[22:23], v[51:52]
	v_add_f64 v[51:52], v[33:34], v[57:58]
	v_fma_f64 v[22:23], v[26:27], -0.5, v[22:23]
	v_add_f64 v[26:27], v[37:38], -v[130:131]
	v_add_f64 v[57:58], v[20:21], v[76:77]
	v_fma_f64 v[16:17], v[86:87], -0.5, v[16:17]
	v_add_f64 v[37:38], v[39:40], -v[41:42]
	v_fma_f64 v[32:33], v[90:91], -0.5, v[33:34]
	v_add_f64 v[86:87], v[74:75], -v[72:73]
	;; [unrolled: 2-line block ×4, first 2 shown]
	v_add_f64 v[45:46], v[47:48], -v[61:62]
	v_fma_f64 v[20:21], v[96:97], -0.5, v[20:21]
	v_add_f64 v[47:48], v[94:95], v[128:129]
	v_add_f64 v[70:71], v[104:105], v[130:131]
	;; [unrolled: 1-line block ×4, first 2 shown]
	v_add3_u32 v107, 0, v116, v88
	v_add3_u32 v109, 0, v117, v89
	v_add_f64 v[61:62], v[110:111], v[61:62]
	v_lshlrev_b32_e32 v104, 5, v141
	v_lshlrev_b32_e32 v105, 5, v142
	v_add_f64 v[53:54], v[30:31], v[53:54]
	v_lshlrev_b32_e32 v106, 5, v143
	v_lshlrev_b32_e32 v108, 5, v144
	v_fma_f64 v[74:75], v[112:113], s[4:5], v[0:1]
	v_fma_f64 v[0:1], v[112:113], s[10:11], v[0:1]
	v_add_f64 v[55:56], v[55:56], v[72:73]
	v_add3_u32 v110, 0, v114, v119
	v_fma_f64 v[76:77], v[12:13], s[4:5], v[14:15]
	v_fma_f64 v[12:13], v[12:13], s[10:11], v[14:15]
	v_add_f64 v[49:50], v[28:29], v[49:50]
	v_add_f64 v[51:52], v[51:52], v[59:60]
	v_fma_f64 v[59:60], v[10:11], s[10:11], v[22:23]
	v_fma_f64 v[10:11], v[10:11], s[4:5], v[22:23]
	;; [unrolled: 1-line block ×3, first 2 shown]
	v_add_f64 v[57:58], v[57:58], v[78:79]
	v_fma_f64 v[78:79], v[26:27], s[4:5], v[24:25]
	v_fma_f64 v[14:15], v[84:85], s[4:5], v[16:17]
	;; [unrolled: 1-line block ×13, first 2 shown]
	v_add3_u32 v40, 0, v115, v120
	ds_store_2addr_b64 v107, v[47:48], v[74:75] offset1:6
	ds_store_b64 v107, v[0:1] offset:96
	ds_store_2addr_b64 v109, v[70:71], v[76:77] offset1:6
	ds_store_b64 v109, v[12:13] offset:96
	;; [unrolled: 2-line block ×5, first 2 shown]
	s_waitcnt lgkmcnt(0)
	s_barrier
	buffer_gl0_inv
	ds_load_2addr_b64 v[12:15], v99 offset1:126
	ds_load_2addr_b64 v[16:19], v64 offset0:120 offset1:246
	ds_load_2addr_b64 v[20:23], v69 offset0:108 offset1:234
	ds_load_2addr_b64 v[24:27], v65 offset0:116 offset1:242
	ds_load_2addr_b64 v[28:31], v66 offset0:124 offset1:250
	ds_load_2addr_b64 v[32:35], v68 offset0:104 offset1:230
	ds_load_2addr_b64 v[36:39], v67 offset0:112 offset1:238
	ds_load_b64 v[0:1], v99 offset:14112
	s_waitcnt lgkmcnt(0)
	s_barrier
	buffer_gl0_inv
	ds_store_2addr_b64 v107, v[49:50], v[59:60] offset1:6
	ds_store_b64 v107, v[10:11] offset:96
	ds_store_2addr_b64 v109, v[53:54], v[72:73] offset1:6
	ds_store_b64 v109, v[78:79] offset:96
	;; [unrolled: 2-line block ×5, first 2 shown]
	s_waitcnt lgkmcnt(0)
	s_barrier
	buffer_gl0_inv
	s_clause 0x9
	global_load_b128 v[48:51], v104, s[8:9] offset:272
	global_load_b128 v[52:55], v104, s[8:9] offset:256
	;; [unrolled: 1-line block ×10, first 2 shown]
	ds_load_2addr_b64 v[88:91], v69 offset0:108 offset1:234
	ds_load_2addr_b64 v[8:11], v64 offset0:120 offset1:246
	ds_load_2addr_b64 v[120:123], v65 offset0:116 offset1:242
	ds_load_2addr_b64 v[124:127], v68 offset0:104 offset1:230
	ds_load_2addr_b64 v[128:131], v67 offset0:112 offset1:238
	ds_load_b64 v[4:5], v99 offset:14112
	s_waitcnt vmcnt(9) lgkmcnt(5)
	v_mul_f64 v[40:41], v[88:89], v[50:51]
	s_waitcnt vmcnt(8) lgkmcnt(4)
	v_mul_f64 v[42:43], v[10:11], v[54:55]
	s_waitcnt vmcnt(7)
	v_mul_f64 v[44:45], v[90:91], v[72:73]
	s_waitcnt vmcnt(6) lgkmcnt(3)
	v_mul_f64 v[46:47], v[120:121], v[78:79]
	s_waitcnt vmcnt(5)
	;; [unrolled: 4-line block ×4, first 2 shown]
	v_mul_f64 v[67:68], v[130:131], v[114:115]
	s_waitcnt vmcnt(0) lgkmcnt(0)
	v_mul_f64 v[96:97], v[4:5], v[118:119]
	v_mul_f64 v[50:51], v[20:21], v[50:51]
	;; [unrolled: 1-line block ×11, first 2 shown]
	v_fma_f64 v[74:75], v[20:21], v[48:49], v[40:41]
	v_fma_f64 v[78:79], v[18:19], v[52:53], v[42:43]
	;; [unrolled: 1-line block ×10, first 2 shown]
	v_fma_f64 v[56:57], v[88:89], v[48:49], -v[50:51]
	v_fma_f64 v[88:89], v[120:121], v[76:77], -v[132:133]
	;; [unrolled: 1-line block ×10, first 2 shown]
	v_add_nc_u32_e32 v104, 0x800, v99
	v_add_nc_u32_e32 v105, 0x1000, v99
	;; [unrolled: 1-line block ×6, first 2 shown]
                                        ; implicit-def: $vgpr70_vgpr71
                                        ; implicit-def: $vgpr72_vgpr73
	v_add_f64 v[0:1], v[78:79], v[74:75]
	v_add_f64 v[24:25], v[12:13], v[78:79]
	;; [unrolled: 1-line block ×10, first 2 shown]
	v_add_f64 v[26:27], v[86:87], -v[56:57]
	v_fma_f64 v[0:1], v[0:1], -0.5, v[12:13]
	v_add_f64 v[12:13], v[88:89], -v[10:11]
	v_fma_f64 v[14:15], v[18:19], -0.5, v[14:15]
	;; [unrolled: 2-line block ×5, first 2 shown]
	v_add_f64 v[16:17], v[24:25], v[74:75]
	v_add_f64 v[24:25], v[32:33], v[42:43]
	;; [unrolled: 1-line block ×5, first 2 shown]
	v_lshlrev_b32_e32 v33, 3, v141
	v_lshlrev_b32_e32 v34, 3, v142
	;; [unrolled: 1-line block ×3, first 2 shown]
	v_mul_u32_u24_e32 v32, 0x1b0, v140
	v_lshlrev_b32_e32 v36, 3, v144
	v_lshlrev_b32_e32 v37, 3, v145
	s_delay_alu instid0(VALU_DEP_1)
	v_add3_u32 v114, 0, v32, v37
	v_fma_f64 v[54:55], v[26:27], s[4:5], v[0:1]
	v_fma_f64 v[26:27], v[26:27], s[10:11], v[0:1]
	;; [unrolled: 1-line block ×10, first 2 shown]
	v_and_b32_e32 v4, 0xffff, v136
	v_and_b32_e32 v5, 0xffff, v137
	v_mul_u32_u24_e32 v30, 0x1b0, v138
	v_mul_u32_u24_e32 v31, 0x1b0, v139
	s_delay_alu instid0(VALU_DEP_4) | instskip(NEXT) | instid1(VALU_DEP_4)
	v_mul_u32_u24_e32 v4, 0x1b0, v4
	v_mul_u32_u24_e32 v5, 0x1b0, v5
	s_delay_alu instid0(VALU_DEP_4) | instskip(NEXT) | instid1(VALU_DEP_4)
	v_add3_u32 v110, 0, v30, v35
	v_add3_u32 v112, 0, v31, v36
	s_delay_alu instid0(VALU_DEP_4) | instskip(NEXT) | instid1(VALU_DEP_4)
	v_add3_u32 v113, 0, v4, v33
	v_add3_u32 v111, 0, v5, v34
	ds_load_2addr_b64 v[36:39], v99 offset1:126
	ds_load_2addr_b64 v[32:35], v66 offset0:124 offset1:250
	s_waitcnt lgkmcnt(0)
	s_barrier
	buffer_gl0_inv
	ds_store_2addr_b64 v113, v[16:17], v[54:55] offset1:18
	ds_store_b64 v113, v[26:27] offset:288
	ds_store_2addr_b64 v111, v[24:25], v[67:68] offset1:18
	ds_store_b64 v111, v[12:13] offset:288
	;; [unrolled: 2-line block ×5, first 2 shown]
	s_waitcnt lgkmcnt(0)
	s_barrier
	buffer_gl0_inv
	ds_load_2addr_b64 v[12:15], v99 offset1:126
	ds_load_2addr_b64 v[24:27], v104 offset0:14 offset1:140
	ds_load_2addr_b64 v[52:55], v105 offset0:28 offset1:154
	;; [unrolled: 1-line block ×6, first 2 shown]
                                        ; implicit-def: $vgpr4_vgpr5
                                        ; implicit-def: $vgpr66_vgpr67
                                        ; implicit-def: $vgpr68_vgpr69
	s_and_saveexec_b32 s1, s0
	s_cbranch_execz .LBB0_21
; %bb.20:
	ds_load_b64 v[0:1], v99 offset:2016
	ds_load_b64 v[2:3], v99 offset:4176
	;; [unrolled: 1-line block ×7, first 2 shown]
.LBB0_21:
	s_or_b32 exec_lo, exec_lo, s1
	v_add_f64 v[115:116], v[86:87], v[56:57]
	v_add_f64 v[117:118], v[88:89], v[10:11]
	;; [unrolled: 1-line block ×6, first 2 shown]
	v_add_f64 v[74:75], v[78:79], -v[74:75]
	v_add_f64 v[78:79], v[38:39], v[88:89]
	v_add_f64 v[88:89], v[32:33], v[90:91]
	v_add_f64 v[42:43], v[58:59], -v[42:43]
	v_add_f64 v[44:45], v[44:45], -v[60:61]
	v_add_f64 v[90:91], v[34:35], v[94:95]
	v_add_f64 v[46:47], v[62:63], -v[46:47]
	v_add_f64 v[94:95], v[8:9], v[96:97]
	v_add_f64 v[40:41], v[40:41], -v[64:65]
	s_waitcnt lgkmcnt(0)
	s_barrier
	buffer_gl0_inv
	v_fma_f64 v[36:37], v[115:116], -0.5, v[36:37]
	v_fma_f64 v[38:39], v[117:118], -0.5, v[38:39]
	;; [unrolled: 1-line block ×5, first 2 shown]
	v_add_f64 v[56:57], v[86:87], v[56:57]
                                        ; implicit-def: $vgpr86_vgpr87
	v_add_f64 v[10:11], v[78:79], v[10:11]
	v_add_f64 v[58:59], v[88:89], v[76:77]
                                        ; implicit-def: $vgpr78_vgpr79
	v_add_f64 v[60:61], v[90:91], v[84:85]
                                        ; implicit-def: $vgpr84_vgpr85
	v_add_f64 v[62:63], v[94:95], v[92:93]
	v_fma_f64 v[76:77], v[74:75], s[10:11], v[36:37]
	v_fma_f64 v[36:37], v[74:75], s[4:5], v[36:37]
	;; [unrolled: 1-line block ×10, first 2 shown]
	ds_store_2addr_b64 v113, v[56:57], v[76:77] offset1:18
	ds_store_b64 v113, v[36:37] offset:288
	ds_store_2addr_b64 v111, v[10:11], v[74:75] offset1:18
	ds_store_b64 v111, v[38:39] offset:288
	;; [unrolled: 2-line block ×5, first 2 shown]
	s_waitcnt lgkmcnt(0)
	s_barrier
	buffer_gl0_inv
	ds_load_2addr_b64 v[8:11], v99 offset1:126
	ds_load_2addr_b64 v[32:35], v104 offset0:14 offset1:140
	ds_load_2addr_b64 v[60:63], v105 offset0:28 offset1:154
	;; [unrolled: 1-line block ×6, first 2 shown]
                                        ; implicit-def: $vgpr74_vgpr75
                                        ; implicit-def: $vgpr76_vgpr77
	s_and_saveexec_b32 s1, s0
	s_cbranch_execz .LBB0_23
; %bb.22:
	ds_load_b64 v[64:65], v99 offset:2016
	ds_load_b64 v[6:7], v99 offset:4176
	;; [unrolled: 1-line block ×7, first 2 shown]
.LBB0_23:
	s_or_b32 exec_lo, exec_lo, s1
	v_mul_lo_u16 v88, v102, 19
	v_mul_lo_u16 v89, v103, 19
	s_mov_b32 s12, 0xe976ee23
	s_mov_b32 s4, 0x429ad128
	;; [unrolled: 1-line block ×3, first 2 shown]
	v_lshrrev_b16 v96, 10, v88
	v_lshrrev_b16 v102, 10, v89
	s_mov_b32 s10, 0x36b3c0b5
	s_mov_b32 s13, 0x3fe11646
	s_mov_b32 s5, 0xbfebfeb5
	v_mul_lo_u16 v88, v96, 54
	v_mul_lo_u16 v89, v102, 54
	s_mov_b32 s15, 0x3fe948f6
	s_mov_b32 s11, 0x3fac98ee
	;; [unrolled: 1-line block ×3, first 2 shown]
	v_sub_nc_u16 v88, v98, v88
	v_sub_nc_u16 v92, v100, v89
	s_mov_b32 s16, 0x5476071b
	s_mov_b32 s24, 0xaaaaaaaa
	;; [unrolled: 1-line block ×3, first 2 shown]
	v_and_b32_e32 v97, 0xff, v88
	v_and_b32_e32 v103, 0xff, v92
	s_mov_b32 s21, 0x3fd5d0dc
	s_mov_b32 s17, 0x3fe77f67
	s_mov_b32 s19, 0xbfe77f67
	v_mul_u32_u24_e32 v88, 6, v97
	v_mul_u32_u24_e32 v92, 6, v103
	s_mov_b32 s25, 0xbff2aaaa
	s_mov_b32 s20, s22
	;; [unrolled: 1-line block ×3, first 2 shown]
	v_lshlrev_b32_e32 v104, 4, v88
	v_lshlrev_b32_e32 v141, 4, v92
	s_mov_b32 s26, 0x37c3f68c
	s_mov_b32 s27, 0xbfdc38aa
	v_and_b32_e32 v96, 0xffff, v96
	s_clause 0xb
	global_load_b128 v[88:91], v104, s[8:9] offset:848
	global_load_b128 v[92:95], v141, s[8:9] offset:848
	;; [unrolled: 1-line block ×12, first 2 shown]
	v_lshrrev_b16 v104, 1, v101
	v_and_b32_e32 v102, 0xffff, v102
	v_mul_u32_u24_e32 v96, 0xbd0, v96
	v_lshlrev_b32_e32 v97, 3, v97
	v_lshlrev_b32_e32 v103, 3, v103
	v_and_b32_e32 v104, 0xffff, v104
	s_delay_alu instid0(VALU_DEP_1) | instskip(NEXT) | instid1(VALU_DEP_1)
	v_mul_u32_u24_e32 v104, 0x97b5, v104
	v_lshrrev_b32_e32 v104, 20, v104
	s_delay_alu instid0(VALU_DEP_1) | instskip(NEXT) | instid1(VALU_DEP_1)
	v_mul_lo_u16 v104, v104, 54
	v_sub_nc_u16 v104, v101, v104
	s_delay_alu instid0(VALU_DEP_1) | instskip(NEXT) | instid1(VALU_DEP_1)
	v_and_b32_e32 v104, 0xffff, v104
	v_mul_u32_u24_e32 v145, 6, v104
	s_delay_alu instid0(VALU_DEP_1)
	v_lshlrev_b32_e32 v165, 4, v145
	s_clause 0x3
	global_load_b128 v[145:148], v165, s[8:9] offset:832
	global_load_b128 v[149:152], v165, s[8:9] offset:848
	;; [unrolled: 1-line block ×4, first 2 shown]
	s_waitcnt vmcnt(14) lgkmcnt(4)
	v_mul_f64 v[169:170], v[62:63], v[94:95]
	v_mul_f64 v[94:95], v[54:55], v[94:95]
	;; [unrolled: 1-line block ×4, first 2 shown]
	s_delay_alu instid0(VALU_DEP_4) | instskip(NEXT) | instid1(VALU_DEP_4)
	v_fma_f64 v[54:55], v[54:55], v[92:93], v[169:170]
	v_fma_f64 v[62:63], v[62:63], v[92:93], -v[94:95]
	s_waitcnt vmcnt(12) lgkmcnt(1)
	v_mul_f64 v[92:93], v[58:59], v[111:112]
	v_mul_f64 v[94:95], v[50:51], v[111:112]
	s_waitcnt vmcnt(11)
	v_mul_f64 v[111:112], v[24:25], v[115:116]
	v_fma_f64 v[52:53], v[52:53], v[88:89], v[161:162]
	s_clause 0x1
	global_load_b128 v[161:164], v165, s[8:9] offset:896
	global_load_b128 v[165:168], v165, s[8:9] offset:912
	v_fma_f64 v[60:61], v[60:61], v[88:89], -v[90:91]
	v_mul_f64 v[88:89], v[56:57], v[107:108]
	v_mul_f64 v[90:91], v[48:49], v[107:108]
	;; [unrolled: 1-line block ×3, first 2 shown]
	s_waitcnt vmcnt(9)
	v_mul_f64 v[115:116], v[44:45], v[131:132]
	s_waitcnt vmcnt(0) lgkmcnt(0)
	s_barrier
	buffer_gl0_inv
	v_fma_f64 v[50:51], v[50:51], v[109:110], v[92:93]
	v_mul_f64 v[92:93], v[38:39], v[127:128]
	v_fma_f64 v[32:33], v[32:33], v[113:114], -v[111:112]
	v_mul_f64 v[111:112], v[18:19], v[143:144]
	v_fma_f64 v[48:49], v[48:49], v[105:106], v[88:89]
	v_fma_f64 v[88:89], v[56:57], v[105:106], -v[90:91]
	v_mul_f64 v[90:91], v[34:35], v[119:120]
	v_mul_f64 v[105:106], v[36:37], v[123:124]
	v_fma_f64 v[56:57], v[58:59], v[109:110], -v[94:95]
	v_mul_f64 v[94:95], v[20:21], v[131:132]
	v_mul_f64 v[109:110], v[22:23], v[135:136]
	;; [unrolled: 1-line block ×4, first 2 shown]
	v_fma_f64 v[24:25], v[24:25], v[113:114], v[107:108]
	v_mul_f64 v[107:108], v[40:41], v[139:140]
	v_mul_f64 v[113:114], v[42:43], v[143:144]
	;; [unrolled: 1-line block ×3, first 2 shown]
	v_fma_f64 v[42:43], v[42:43], v[141:142], -v[111:112]
	v_fma_f64 v[58:59], v[26:27], v[117:118], v[90:91]
	v_fma_f64 v[28:29], v[28:29], v[121:122], v[105:106]
	v_mul_f64 v[90:91], v[26:27], v[119:120]
	v_mul_f64 v[105:106], v[46:47], v[135:136]
	v_fma_f64 v[26:27], v[30:31], v[125:126], v[92:93]
	v_mul_f64 v[92:93], v[30:31], v[127:128]
	v_fma_f64 v[30:31], v[20:21], v[129:130], v[115:116]
	v_fma_f64 v[44:45], v[44:45], v[129:130], -v[94:95]
	v_fma_f64 v[20:21], v[46:47], v[133:134], -v[109:110]
	;; [unrolled: 1-line block ×4, first 2 shown]
	v_fma_f64 v[16:17], v[16:17], v[137:138], v[107:108]
	v_add_f64 v[94:95], v[52:53], v[48:49]
	v_fma_f64 v[18:19], v[18:19], v[141:142], v[113:114]
	v_add_f64 v[111:112], v[62:63], -v[56:57]
	v_mul_f64 v[141:142], v[78:79], v[159:160]
	v_fma_f64 v[78:79], v[78:79], v[157:158], -v[143:144]
	v_add_f64 v[46:47], v[24:25], v[28:29]
	v_fma_f64 v[34:35], v[34:35], v[117:118], -v[90:91]
	v_fma_f64 v[22:23], v[22:23], v[133:134], v[105:106]
	v_add_f64 v[90:91], v[58:59], v[26:27]
	v_fma_f64 v[38:39], v[38:39], v[125:126], -v[92:93]
	v_add_f64 v[92:93], v[54:55], v[50:51]
	v_add_f64 v[105:106], v[60:61], -v[88:89]
	v_add_f64 v[113:114], v[42:43], -v[20:21]
	;; [unrolled: 1-line block ×4, first 2 shown]
	v_add_f64 v[115:116], v[30:31], v[16:17]
	v_fma_f64 v[68:69], v[68:69], v[157:158], v[141:142]
	v_add_f64 v[117:118], v[94:95], v[46:47]
	v_add_f64 v[121:122], v[22:23], v[18:19]
	v_add_f64 v[119:120], v[34:35], -v[38:39]
	v_add_f64 v[123:124], v[92:93], v[90:91]
	v_add_f64 v[129:130], v[113:114], -v[111:112]
	v_add_f64 v[125:126], v[107:108], -v[105:106]
	;; [unrolled: 1-line block ×4, first 2 shown]
	v_add_f64 v[105:106], v[107:108], v[105:106]
	v_add_f64 v[107:108], v[109:110], -v[107:108]
	v_add_f64 v[46:47], v[94:95], -v[46:47]
	v_add_f64 v[117:118], v[115:116], v[117:118]
	v_add_f64 v[115:116], v[115:116], -v[94:95]
	v_add_f64 v[135:136], v[90:91], -v[121:122]
	;; [unrolled: 1-line block ×4, first 2 shown]
	v_add_f64 v[123:124], v[121:122], v[123:124]
	v_add_f64 v[121:122], v[121:122], -v[92:93]
	v_add_f64 v[111:112], v[113:114], v[111:112]
	v_mul_f64 v[125:126], v[125:126], s[12:13]
	v_mul_f64 v[137:138], v[127:128], s[4:5]
	;; [unrolled: 1-line block ×4, first 2 shown]
	v_add_f64 v[113:114], v[119:120], -v[113:114]
	v_add_f64 v[105:106], v[105:106], v[109:110]
	v_add_f64 v[12:13], v[12:13], v[117:118]
	v_mul_f64 v[94:95], v[115:116], s[10:11]
	v_mul_f64 v[135:136], v[135:136], s[14:15]
	;; [unrolled: 1-line block ×3, first 2 shown]
	v_add_f64 v[14:15], v[14:15], v[123:124]
	v_mul_f64 v[92:93], v[121:122], s[10:11]
	v_add_f64 v[109:110], v[111:112], v[119:120]
	v_fma_f64 v[111:112], v[127:128], s[4:5], -v[125:126]
	v_fma_f64 v[119:120], v[107:108], s[22:23], v[125:126]
	v_fma_f64 v[107:108], v[107:108], s[20:21], -v[137:138]
	v_fma_f64 v[125:126], v[133:134], s[4:5], -v[129:130]
	v_fma_f64 v[115:116], v[115:116], s[10:11], v[131:132]
	v_fma_f64 v[127:128], v[46:47], s[18:19], -v[131:132]
	v_mul_f64 v[131:132], v[2:3], v[147:148]
	v_mul_f64 v[133:134], v[86:87], v[151:152]
	v_mul_f64 v[137:138], v[84:85], v[155:156]
	v_fma_f64 v[117:118], v[117:118], s[24:25], v[12:13]
	v_fma_f64 v[46:47], v[46:47], s[16:17], -v[94:95]
	v_fma_f64 v[94:95], v[113:114], s[22:23], v[129:130]
	v_fma_f64 v[121:122], v[121:122], s[10:11], v[135:136]
	v_fma_f64 v[113:114], v[113:114], s[20:21], -v[139:140]
	v_fma_f64 v[123:124], v[123:124], s[24:25], v[14:15]
	v_fma_f64 v[129:130], v[90:91], s[18:19], -v[135:136]
	v_fma_f64 v[90:91], v[90:91], s[16:17], -v[92:93]
	v_mul_f64 v[92:93], v[6:7], v[147:148]
	v_mul_f64 v[135:136], v[72:73], v[151:152]
	;; [unrolled: 1-line block ×3, first 2 shown]
	v_fma_f64 v[119:120], v[105:106], s[26:27], v[119:120]
	v_fma_f64 v[111:112], v[105:106], s[26:27], v[111:112]
	;; [unrolled: 1-line block ×6, first 2 shown]
	v_add_f64 v[115:116], v[115:116], v[117:118]
	v_add_f64 v[127:128], v[127:128], v[117:118]
	v_fma_f64 v[155:156], v[109:110], s[26:27], v[94:95]
	v_add_f64 v[117:118], v[46:47], v[117:118]
	v_fma_f64 v[109:110], v[109:110], s[26:27], v[113:114]
	v_add_f64 v[113:114], v[121:122], v[123:124]
	v_add_f64 v[121:122], v[129:130], v[123:124]
	;; [unrolled: 1-line block ×3, first 2 shown]
	v_fma_f64 v[46:47], v[2:3], v[145:146], v[92:93]
	v_fma_f64 v[90:91], v[6:7], v[145:146], -v[131:132]
	v_mul_f64 v[147:148], v[76:77], v[163:164]
	v_mul_f64 v[151:152], v[66:67], v[163:164]
	;; [unrolled: 1-line block ×4, first 2 shown]
	v_fma_f64 v[92:93], v[86:87], v[149:150], -v[135:136]
	v_fma_f64 v[84:85], v[84:85], v[153:154], -v[139:140]
	v_add_f64 v[2:3], v[119:120], v[115:116]
	v_add_f64 v[6:7], v[117:118], -v[111:112]
	v_add_f64 v[86:87], v[111:112], v[117:118]
	v_add_f64 v[111:112], v[115:116], -v[119:120]
	v_add_f64 v[115:116], v[155:156], v[113:114]
	v_add_f64 v[117:118], v[109:110], v[121:122]
	v_add_f64 v[119:120], v[123:124], -v[125:126]
	v_add_f64 v[123:124], v[125:126], v[123:124]
	v_fma_f64 v[66:67], v[66:67], v[161:162], v[147:148]
	v_fma_f64 v[94:95], v[76:77], v[161:162], -v[151:152]
	v_fma_f64 v[76:77], v[4:5], v[165:166], v[107:108]
	v_fma_f64 v[74:75], v[74:75], v[165:166], -v[129:130]
	v_add_f64 v[4:5], v[105:106], v[127:128]
	v_add_f64 v[106:107], v[127:128], -v[105:106]
	v_add_f64 v[108:109], v[121:122], -v[109:110]
	;; [unrolled: 1-line block ×3, first 2 shown]
	v_mul_u32_u24_e32 v105, 0xbd0, v102
	v_add3_u32 v102, 0, v96, v97
	v_lshl_add_u32 v96, v104, 3, 0
	s_delay_alu instid0(VALU_DEP_3) | instskip(NEXT) | instid1(VALU_DEP_3)
	v_add3_u32 v97, 0, v105, v103
	v_add_nc_u32_e32 v105, 0x400, v102
	s_delay_alu instid0(VALU_DEP_2)
	v_add_nc_u32_e32 v103, 0x400, v97
	ds_store_2addr_b64 v102, v[12:13], v[2:3] offset1:54
	ds_store_2addr_b64 v102, v[4:5], v[6:7] offset0:108 offset1:162
	ds_store_2addr_b64 v105, v[86:87], v[106:107] offset0:88 offset1:142
	ds_store_b64 v102, v[111:112] offset:2592
	ds_store_2addr_b64 v97, v[14:15], v[115:116] offset1:54
	ds_store_2addr_b64 v97, v[117:118], v[119:120] offset0:108 offset1:162
	ds_store_2addr_b64 v103, v[123:124], v[108:109] offset0:88 offset1:142
	ds_store_b64 v97, v[113:114] offset:2592
	s_and_saveexec_b32 s1, s0
	s_cbranch_execz .LBB0_25
; %bb.24:
	v_add_f64 v[2:3], v[72:73], v[66:67]
	v_add_f64 v[4:5], v[46:47], v[76:77]
	v_add_f64 v[6:7], v[78:79], -v[84:85]
	v_add_f64 v[12:13], v[92:93], -v[94:95]
	v_add_f64 v[14:15], v[70:71], v[68:69]
	v_add_f64 v[86:87], v[90:91], -v[74:75]
	v_add_f64 v[106:107], v[2:3], v[4:5]
	s_delay_alu instid0(VALU_DEP_4) | instskip(NEXT) | instid1(VALU_DEP_4)
	v_add_f64 v[108:109], v[6:7], -v[12:13]
	v_add_f64 v[110:111], v[4:5], -v[14:15]
	s_delay_alu instid0(VALU_DEP_4)
	v_add_f64 v[112:113], v[12:13], -v[86:87]
	v_add_f64 v[12:13], v[6:7], v[12:13]
	v_add_f64 v[6:7], v[86:87], -v[6:7]
	v_add_f64 v[106:107], v[14:15], v[106:107]
	v_add_f64 v[14:15], v[14:15], -v[2:3]
	v_add_f64 v[2:3], v[2:3], -v[4:5]
	v_mul_f64 v[4:5], v[108:109], s[12:13]
	v_mul_f64 v[108:109], v[110:111], s[14:15]
	;; [unrolled: 1-line block ×3, first 2 shown]
	v_add_f64 v[12:13], v[12:13], v[86:87]
	v_add_f64 v[0:1], v[0:1], v[106:107]
	v_mul_f64 v[114:115], v[14:15], s[10:11]
	v_fma_f64 v[86:87], v[6:7], s[22:23], v[4:5]
	v_fma_f64 v[14:15], v[14:15], s[10:11], v[108:109]
	v_fma_f64 v[116:117], v[2:3], s[18:19], -v[108:109]
	v_fma_f64 v[6:7], v[6:7], s[20:21], -v[110:111]
	;; [unrolled: 1-line block ×3, first 2 shown]
	v_fma_f64 v[106:107], v[106:107], s[24:25], v[0:1]
	v_fma_f64 v[2:3], v[2:3], s[16:17], -v[114:115]
	v_fma_f64 v[86:87], v[12:13], s[26:27], v[86:87]
	v_fma_f64 v[6:7], v[12:13], s[26:27], v[6:7]
	;; [unrolled: 1-line block ×3, first 2 shown]
	v_add_f64 v[14:15], v[14:15], v[106:107]
	v_add_f64 v[12:13], v[116:117], v[106:107]
	;; [unrolled: 1-line block ×3, first 2 shown]
	s_delay_alu instid0(VALU_DEP_3) | instskip(NEXT) | instid1(VALU_DEP_3)
	v_add_f64 v[110:111], v[86:87], v[14:15]
	v_add_f64 v[106:107], v[12:13], -v[6:7]
	s_delay_alu instid0(VALU_DEP_3)
	v_add_f64 v[108:109], v[2:3], -v[4:5]
	v_add_f64 v[6:7], v[6:7], v[12:13]
	v_add_f64 v[2:3], v[4:5], v[2:3]
	v_add_f64 v[4:5], v[14:15], -v[86:87]
	v_add_nc_u32_e32 v12, 0x2c00, v96
	v_add_nc_u32_e32 v13, 0x3000, v96
	ds_store_2addr_b64 v12, v[0:1], v[110:111] offset0:104 offset1:158
	ds_store_2addr_b64 v13, v[6:7], v[108:109] offset0:84 offset1:138
	;; [unrolled: 1-line block ×3, first 2 shown]
	ds_store_b64 v96, v[4:5] offset:14688
.LBB0_25:
	s_or_b32 exec_lo, exec_lo, s1
	v_add_f64 v[0:1], v[32:33], v[36:37]
	v_add_f64 v[2:3], v[60:61], v[88:89]
	;; [unrolled: 1-line block ×5, first 2 shown]
	v_add_f64 v[14:15], v[52:53], -v[48:49]
	v_add_f64 v[16:17], v[16:17], -v[30:31]
	;; [unrolled: 1-line block ×4, first 2 shown]
	v_add_f64 v[20:21], v[20:21], v[42:43]
	v_add_f64 v[18:19], v[18:19], -v[22:23]
	v_add_f64 v[22:23], v[58:59], -v[26:27]
	s_waitcnt lgkmcnt(0)
	s_barrier
	buffer_gl0_inv
	v_add_f64 v[28:29], v[2:3], v[0:1]
	v_add_f64 v[26:27], v[6:7], v[4:5]
	v_add_f64 v[32:33], v[0:1], -v[12:13]
	v_add_f64 v[34:35], v[12:13], -v[2:3]
	;; [unrolled: 1-line block ×5, first 2 shown]
	v_add_f64 v[2:3], v[16:17], v[14:15]
	v_add_f64 v[40:41], v[18:19], -v[30:31]
	v_add_f64 v[42:43], v[30:31], -v[22:23]
	v_add_f64 v[14:15], v[24:25], -v[16:17]
	v_add_f64 v[16:17], v[18:19], v[30:31]
	v_add_f64 v[12:13], v[12:13], v[28:29]
	v_add_f64 v[28:29], v[4:5], -v[20:21]
	v_add_f64 v[26:27], v[20:21], v[26:27]
	v_add_f64 v[20:21], v[20:21], -v[6:7]
	v_mul_f64 v[30:31], v[32:33], s[14:15]
	v_mul_f64 v[32:33], v[34:35], s[10:11]
	;; [unrolled: 1-line block ×4, first 2 shown]
	v_add_f64 v[4:5], v[6:7], -v[4:5]
	v_add_f64 v[2:3], v[2:3], v[24:25]
	v_add_f64 v[48:49], v[8:9], v[12:13]
	v_add_f64 v[8:9], v[22:23], -v[18:19]
	v_mul_f64 v[18:19], v[28:29], s[14:15]
	v_mul_f64 v[28:29], v[40:41], s[12:13]
	;; [unrolled: 1-line block ×3, first 2 shown]
	v_add_f64 v[50:51], v[10:11], v[26:27]
	v_mul_f64 v[6:7], v[20:21], s[10:11]
	v_add_f64 v[10:11], v[16:17], v[22:23]
	v_fma_f64 v[16:17], v[34:35], s[10:11], v[30:31]
	v_fma_f64 v[22:23], v[0:1], s[16:17], -v[32:33]
	v_fma_f64 v[24:25], v[14:15], s[22:23], v[36:37]
	v_fma_f64 v[32:33], v[38:39], s[4:5], -v[36:37]
	v_fma_f64 v[14:15], v[14:15], s[20:21], -v[44:45]
	;; [unrolled: 1-line block ×3, first 2 shown]
	v_fma_f64 v[12:13], v[12:13], s[24:25], v[48:49]
	v_fma_f64 v[20:21], v[20:21], s[10:11], v[18:19]
	v_fma_f64 v[30:31], v[8:9], s[22:23], v[28:29]
	v_fma_f64 v[28:29], v[42:43], s[4:5], -v[28:29]
	v_fma_f64 v[8:9], v[8:9], s[20:21], -v[40:41]
	v_fma_f64 v[26:27], v[26:27], s[24:25], v[50:51]
	v_fma_f64 v[18:19], v[4:5], s[18:19], -v[18:19]
	v_fma_f64 v[4:5], v[4:5], s[16:17], -v[6:7]
	v_fma_f64 v[6:7], v[2:3], s[26:27], v[24:25]
	v_fma_f64 v[24:25], v[2:3], s[26:27], v[32:33]
	;; [unrolled: 1-line block ×3, first 2 shown]
	v_add_f64 v[14:15], v[16:17], v[12:13]
	v_add_f64 v[0:1], v[0:1], v[12:13]
	;; [unrolled: 1-line block ×3, first 2 shown]
	v_fma_f64 v[16:17], v[10:11], s[26:27], v[30:31]
	v_fma_f64 v[22:23], v[10:11], s[26:27], v[28:29]
	;; [unrolled: 1-line block ×3, first 2 shown]
	v_add_f64 v[10:11], v[20:21], v[26:27]
	v_add_f64 v[18:19], v[18:19], v[26:27]
	;; [unrolled: 1-line block ×3, first 2 shown]
	v_add_nc_u32_e32 v20, 0x2400, v99
	v_add_f64 v[28:29], v[14:15], -v[6:7]
	v_add_f64 v[30:31], v[0:1], -v[2:3]
	v_add_f64 v[32:33], v[24:25], v[12:13]
	v_add_f64 v[34:35], v[12:13], -v[24:25]
	v_add_f64 v[36:37], v[2:3], v[0:1]
	v_add_f64 v[38:39], v[6:7], v[14:15]
	v_add_f64 v[40:41], v[10:11], -v[16:17]
	v_add_f64 v[42:43], v[18:19], -v[8:9]
	v_add_f64 v[44:45], v[22:23], v[4:5]
	v_add_f64 v[52:53], v[4:5], -v[22:23]
	v_add_f64 v[54:55], v[8:9], v[18:19]
	v_add_f64 v[56:57], v[16:17], v[10:11]
	v_add_nc_u32_e32 v4, 0x400, v99
	v_add_nc_u32_e32 v8, 0x1400, v99
	;; [unrolled: 1-line block ×5, first 2 shown]
	ds_load_2addr_b64 v[0:3], v99 offset1:126
	ds_load_b64 v[86:87], v99 offset:14112
	ds_load_2addr_b64 v[4:7], v4 offset0:124 offset1:250
	ds_load_2addr_b64 v[12:15], v8 offset0:116 offset1:242
	;; [unrolled: 1-line block ×6, first 2 shown]
	s_waitcnt lgkmcnt(0)
	s_barrier
	buffer_gl0_inv
	ds_store_2addr_b64 v102, v[48:49], v[28:29] offset1:54
	ds_store_2addr_b64 v102, v[30:31], v[32:33] offset0:108 offset1:162
	ds_store_2addr_b64 v105, v[34:35], v[36:37] offset0:88 offset1:142
	ds_store_b64 v102, v[38:39] offset:2592
	ds_store_2addr_b64 v97, v[50:51], v[40:41] offset1:54
	ds_store_2addr_b64 v97, v[42:43], v[44:45] offset0:108 offset1:162
	ds_store_2addr_b64 v103, v[52:53], v[54:55] offset0:88 offset1:142
	ds_store_b64 v97, v[56:57] offset:2592
	s_and_saveexec_b32 s1, s0
	s_cbranch_execz .LBB0_27
; %bb.26:
	v_add_f64 v[28:29], v[90:91], v[74:75]
	v_add_f64 v[30:31], v[92:93], v[94:95]
	;; [unrolled: 1-line block ×3, first 2 shown]
	v_add_f64 v[34:35], v[72:73], -v[66:67]
	v_add_f64 v[36:37], v[68:69], -v[70:71]
	;; [unrolled: 1-line block ×3, first 2 shown]
	s_mov_b32 s4, 0x37e14327
	s_mov_b32 s5, 0x3fe948f6
	;; [unrolled: 1-line block ×6, first 2 shown]
	v_add_f64 v[40:41], v[30:31], v[28:29]
	v_add_f64 v[42:43], v[28:29], -v[32:33]
	v_add_f64 v[44:45], v[32:33], -v[30:31]
	;; [unrolled: 1-line block ×5, first 2 shown]
	v_add_f64 v[30:31], v[36:37], v[34:35]
	v_add_f64 v[34:35], v[38:39], -v[36:37]
	v_add_f64 v[32:33], v[32:33], v[40:41]
	v_mul_f64 v[36:37], v[42:43], s[4:5]
	s_mov_b32 s4, 0x429ad128
	v_mul_f64 v[42:43], v[46:47], s[12:13]
	s_mov_b32 s5, 0xbfebfeb5
	v_mul_f64 v[40:41], v[44:45], s[10:11]
	v_mul_f64 v[46:47], v[48:49], s[4:5]
	s_mov_b32 s12, 0xaaaaaaaa
	s_mov_b32 s13, 0xbff2aaaa
	v_add_f64 v[30:31], v[30:31], v[38:39]
	v_add_f64 v[50:51], v[64:65], v[32:33]
	v_fma_f64 v[38:39], v[44:45], s[10:11], v[36:37]
	v_fma_f64 v[44:45], v[34:35], s[16:17], v[42:43]
	s_mov_b32 s17, 0x3fd5d0dc
	v_fma_f64 v[40:41], v[28:29], s[14:15], -v[40:41]
	s_mov_b32 s15, 0xbfe77f67
	v_fma_f64 v[42:43], v[48:49], s[4:5], -v[42:43]
	v_fma_f64 v[34:35], v[34:35], s[16:17], -v[46:47]
	;; [unrolled: 1-line block ×3, first 2 shown]
	s_mov_b32 s4, 0x37c3f68c
	s_mov_b32 s5, 0xbfdc38aa
	v_fma_f64 v[32:33], v[32:33], s[12:13], v[50:51]
	v_fma_f64 v[36:37], v[30:31], s[4:5], v[44:45]
	;; [unrolled: 1-line block ×4, first 2 shown]
	s_delay_alu instid0(VALU_DEP_4) | instskip(SKIP_2) | instid1(VALU_DEP_3)
	v_add_f64 v[34:35], v[38:39], v[32:33]
	v_add_f64 v[28:29], v[28:29], v[32:33]
	;; [unrolled: 1-line block ×3, first 2 shown]
	v_add_f64 v[38:39], v[34:35], -v[36:37]
	s_delay_alu instid0(VALU_DEP_3) | instskip(NEXT) | instid1(VALU_DEP_3)
	v_add_f64 v[40:41], v[28:29], -v[30:31]
	v_add_f64 v[44:45], v[42:43], v[32:33]
	v_add_f64 v[32:33], v[32:33], -v[42:43]
	v_add_f64 v[28:29], v[30:31], v[28:29]
	v_add_f64 v[30:31], v[36:37], v[34:35]
	v_add_nc_u32_e32 v34, 0x2c00, v96
	v_add_nc_u32_e32 v35, 0x3000, v96
	ds_store_2addr_b64 v34, v[50:51], v[38:39] offset0:104 offset1:158
	ds_store_2addr_b64 v35, v[40:41], v[44:45] offset0:84 offset1:138
	;; [unrolled: 1-line block ×3, first 2 shown]
	ds_store_b64 v96, v[30:31] offset:14688
.LBB0_27:
	s_or_b32 exec_lo, exec_lo, s1
	s_waitcnt lgkmcnt(0)
	s_barrier
	buffer_gl0_inv
	s_and_saveexec_b32 s0, vcc_lo
	s_cbranch_execz .LBB0_29
; %bb.28:
	v_dual_mov_b32 v85, 0 :: v_dual_lshlrev_b32 v84, 2, v101
	v_lshrrev_b32_e32 v112, 1, v98
	v_mul_lo_u32 v115, s2, v83
	v_mad_u64_u32 v[96:97], null, s2, v82, 0
	s_delay_alu instid0(VALU_DEP_4)
	v_lshlrev_b64 v[28:29], 4, v[84:85]
	v_lshlrev_b32_e32 v84, 2, v100
	v_mul_hi_u32 v120, 0xad602b59, v112
	v_dual_mov_b32 v125, v85 :: v_dual_add_nc_u32 v88, 0x1c00, v99
	v_mov_b32_e32 v123, v85
	v_add_co_u32 v30, vcc_lo, s8, v28
	v_add_co_ci_u32_e32 v31, vcc_lo, s9, v29, vcc_lo
	v_lshlrev_b64 v[36:37], 4, v[84:85]
	s_delay_alu instid0(VALU_DEP_3) | instskip(NEXT) | instid1(VALU_DEP_3)
	v_add_co_u32 v28, vcc_lo, 0x1000, v30
	v_add_co_ci_u32_e32 v29, vcc_lo, 0, v31, vcc_lo
	v_add_co_u32 v30, vcc_lo, 0x1780, v30
	v_add_co_ci_u32_e32 v31, vcc_lo, 0, v31, vcc_lo
	v_lshlrev_b32_e32 v84, 2, v98
	v_add_co_u32 v36, vcc_lo, s8, v36
	v_add_co_ci_u32_e32 v37, vcc_lo, s9, v37, vcc_lo
	s_clause 0x3
	global_load_b128 v[32:35], v[28:29], off offset:1920
	global_load_b128 v[44:47], v[30:31], off offset:48
	;; [unrolled: 1-line block ×4, first 2 shown]
	v_lshlrev_b64 v[28:29], 4, v[84:85]
	v_add_co_u32 v30, vcc_lo, 0x1780, v36
	v_add_co_ci_u32_e32 v31, vcc_lo, 0, v37, vcc_lo
	v_add_co_u32 v52, vcc_lo, 0x1000, v36
	v_add_co_ci_u32_e32 v53, vcc_lo, 0, v37, vcc_lo
	;; [unrolled: 2-line block ×3, first 2 shown]
	global_load_b128 v[36:39], v[30:31], off offset:16
	v_add_co_u32 v28, vcc_lo, 0x1780, v54
	v_add_co_ci_u32_e32 v29, vcc_lo, 0, v55, vcc_lo
	v_add_co_u32 v64, vcc_lo, 0x1000, v54
	v_add_co_ci_u32_e32 v65, vcc_lo, 0, v55, vcc_lo
	s_clause 0x6
	global_load_b128 v[52:55], v[52:53], off offset:1920
	global_load_b128 v[60:63], v[30:31], off offset:32
	;; [unrolled: 1-line block ×7, first 2 shown]
	v_mul_lo_u32 v84, s3, v82
	v_add_nc_u32_e32 v92, 0xc00, v99
	v_add_nc_u32_e32 v111, 0x2c00, v99
	;; [unrolled: 1-line block ×3, first 2 shown]
	v_dual_mov_b32 v116, v85 :: v_dual_add_nc_u32 v103, 0x400, v99
	v_dual_mov_b32 v118, v85 :: v_dual_add_nc_u32 v107, 0x1400, v99
	ds_load_b64 v[82:83], v99 offset:14112
	ds_load_2addr_b64 v[28:31], v99 offset1:126
	ds_load_2addr_b64 v[88:91], v88 offset0:112 offset1:238
	ds_load_2addr_b64 v[92:95], v92 offset0:120 offset1:246
	;; [unrolled: 1-line block ×5, first 2 shown]
	v_add3_u32 v97, v97, v115, v84
	v_lshrrev_b32_e32 v115, 7, v120
	v_mov_b32_e32 v120, v85
	ds_load_2addr_b64 v[111:114], v111 offset0:104 offset1:230
	v_add_nc_u32_e32 v117, 0x7e, v98
	v_lshlrev_b64 v[96:97], 4, v[96:97]
	v_mul_u32_u24_e32 v115, 0x17a, v115
	v_lshlrev_b64 v[80:81], 4, v[80:81]
	v_add_nc_u32_e32 v119, 0xfc, v98
	v_lshrrev_b32_e32 v121, 1, v117
	s_mov_b32 s8, 0x134454ff
	v_sub_nc_u32_e32 v98, v98, v115
	v_add_co_u32 v96, vcc_lo, s6, v96
	v_add_co_ci_u32_e32 v97, vcc_lo, s7, v97, vcc_lo
	s_delay_alu instid0(VALU_DEP_3) | instskip(NEXT) | instid1(VALU_DEP_3)
	v_lshlrev_b32_e32 v98, 4, v98
	v_add_co_u32 v180, vcc_lo, v96, v80
	v_mul_hi_u32 v84, 0xad602b59, v121
	s_delay_alu instid0(VALU_DEP_4) | instskip(NEXT) | instid1(VALU_DEP_3)
	v_add_co_ci_u32_e32 v181, vcc_lo, v97, v81, vcc_lo
	v_add_co_u32 v80, vcc_lo, v180, v98
	s_mov_b32 s9, 0x3fee6f0e
	s_delay_alu instid0(VALU_DEP_2) | instskip(NEXT) | instid1(VALU_DEP_4)
	v_add_co_ci_u32_e32 v81, vcc_lo, 0, v181, vcc_lo
	v_lshrrev_b32_e32 v84, 7, v84
	s_mov_b32 s11, 0xbfee6f0e
	s_mov_b32 s10, s8
	;; [unrolled: 1-line block ×4, first 2 shown]
	v_mul_u32_u24_e32 v115, 0x17a, v84
	s_mov_b32 s5, 0x3fe2cf23
	s_mov_b32 s4, s2
	v_lshrrev_b32_e32 v122, 1, v119
	s_mov_b32 s0, 0x372fe950
	v_sub_nc_u32_e32 v96, v117, v115
	s_mov_b32 s1, 0x3fd3c6ef
	v_mov_b32_e32 v121, v85
	v_mul_hi_u32 v122, 0xad602b59, v122
	s_delay_alu instid0(VALU_DEP_3) | instskip(SKIP_3) | instid1(VALU_DEP_4)
	v_mad_u32_u24 v84, 0x762, v84, v96
	v_add_co_u32 v96, vcc_lo, 0x1000, v80
	v_add_co_ci_u32_e32 v97, vcc_lo, 0, v81, vcc_lo
	v_add_co_u32 v152, vcc_lo, 0x2000, v80
	v_add_nc_u32_e32 v115, 0x17a, v84
	v_add_co_ci_u32_e32 v153, vcc_lo, 0, v81, vcc_lo
	v_lshlrev_b64 v[126:127], 4, v[84:85]
	v_add_co_u32 v154, vcc_lo, 0x4000, v80
	v_add_co_ci_u32_e32 v155, vcc_lo, 0, v81, vcc_lo
	v_add_co_u32 v156, vcc_lo, 0x5000, v80
	v_lshlrev_b64 v[115:116], 4, v[115:116]
	v_add_nc_u32_e32 v117, 0x2f4, v84
	v_add_co_ci_u32_e32 v157, vcc_lo, 0, v81, vcc_lo
	v_lshrrev_b32_e32 v122, 7, v122
	s_delay_alu instid0(VALU_DEP_1) | instskip(NEXT) | instid1(VALU_DEP_1)
	v_mul_u32_u24_e32 v124, 0x17a, v122
	v_sub_nc_u32_e32 v124, v119, v124
	v_add_nc_u32_e32 v119, 0x46e, v84
	v_add_nc_u32_e32 v84, 0x5e8, v84
	s_waitcnt vmcnt(11)
	v_mul_f64 v[134:135], v[18:19], v[34:35]
	s_waitcnt vmcnt(10)
	v_mul_f64 v[128:129], v[86:87], v[46:47]
	s_waitcnt lgkmcnt(7)
	v_mul_f64 v[46:47], v[82:83], v[46:47]
	s_waitcnt vmcnt(8)
	v_mul_f64 v[130:131], v[24:25], v[50:51]
	s_waitcnt lgkmcnt(5)
	v_mul_f64 v[50:51], v[88:89], v[50:51]
	v_mul_f64 v[132:133], v[22:23], v[42:43]
	s_waitcnt lgkmcnt(3)
	v_mul_f64 v[42:43], v[101:102], v[42:43]
	v_mul_f64 v[34:35], v[94:95], v[34:35]
	s_waitcnt vmcnt(7)
	v_mul_f64 v[136:137], v[14:15], v[38:39]
	s_waitcnt lgkmcnt(1)
	v_mul_f64 v[38:39], v[109:110], v[38:39]
	s_waitcnt vmcnt(6)
	v_mul_f64 v[138:139], v[16:17], v[54:55]
	s_waitcnt vmcnt(5)
	v_mul_f64 v[140:141], v[20:21], v[62:63]
	s_waitcnt vmcnt(4)
	v_mul_f64 v[142:143], v[10:11], v[58:59]
	s_waitcnt vmcnt(3)
	v_mul_f64 v[144:145], v[12:13], v[74:75]
	s_waitcnt vmcnt(2)
	v_mul_f64 v[146:147], v[6:7], v[66:67]
	s_waitcnt vmcnt(1)
	v_mul_f64 v[148:149], v[8:9], v[70:71]
	s_waitcnt vmcnt(0)
	v_mul_f64 v[150:151], v[26:27], v[78:79]
	v_mul_f64 v[74:75], v[107:108], v[74:75]
	;; [unrolled: 1-line block ×4, first 2 shown]
	s_waitcnt lgkmcnt(0)
	v_mul_f64 v[70:71], v[111:112], v[70:71]
	v_mul_f64 v[62:63], v[99:100], v[62:63]
	;; [unrolled: 1-line block ×4, first 2 shown]
	v_fma_f64 v[82:83], v[44:45], v[82:83], -v[128:129]
	v_fma_f64 v[44:45], v[86:87], v[44:45], v[46:47]
	v_fma_f64 v[46:47], v[48:49], v[88:89], -v[130:131]
	v_fma_f64 v[24:25], v[24:25], v[48:49], v[50:51]
	;; [unrolled: 2-line block ×5, first 2 shown]
	v_lshlrev_b64 v[38:39], 4, v[119:120]
	v_fma_f64 v[34:35], v[52:53], v[92:93], -v[138:139]
	v_fma_f64 v[42:43], v[60:61], v[99:100], -v[140:141]
	;; [unrolled: 1-line block ×7, first 2 shown]
	v_fma_f64 v[12:13], v[12:13], v[72:73], v[74:75]
	v_fma_f64 v[26:27], v[26:27], v[76:77], v[78:79]
	;; [unrolled: 1-line block ×7, first 2 shown]
	v_add_co_u32 v60, vcc_lo, v180, v126
	v_add_co_ci_u32_e32 v61, vcc_lo, v181, v127, vcc_lo
	v_add_co_u32 v66, vcc_lo, v180, v115
	v_lshlrev_b64 v[64:65], 4, v[117:118]
	v_add_co_ci_u32_e32 v67, vcc_lo, v181, v116, vcc_lo
	v_lshlrev_b64 v[36:37], 4, v[84:85]
	v_add_f64 v[56:57], v[46:47], v[48:49]
	v_add_f64 v[94:95], v[24:25], v[22:23]
	;; [unrolled: 1-line block ×4, first 2 shown]
	v_add_f64 v[105:106], v[18:19], -v[44:45]
	v_add_f64 v[117:118], v[24:25], -v[18:19]
	;; [unrolled: 1-line block ×3, first 2 shown]
	v_add_f64 v[18:19], v[4:5], v[18:19]
	v_add_f64 v[54:55], v[46:47], -v[40:41]
	v_add_f64 v[58:59], v[48:49], -v[82:83]
	;; [unrolled: 1-line block ×4, first 2 shown]
	v_add_f64 v[115:116], v[40:41], v[103:104]
	v_add_f64 v[130:131], v[44:45], -v[22:23]
	v_add_f64 v[142:143], v[34:35], v[30:31]
	v_add_f64 v[72:73], v[32:33], v[42:43]
	v_add_f64 v[68:69], v[34:35], v[50:51]
	v_add_f64 v[70:71], v[24:25], -v[22:23]
	v_add_f64 v[160:161], v[88:89], v[28:29]
	v_add_f64 v[74:75], v[88:89], v[92:93]
	;; [unrolled: 4-line block ×3, first 2 shown]
	v_add_f64 v[100:101], v[6:7], v[8:9]
	v_add_f64 v[111:112], v[14:15], v[20:21]
	;; [unrolled: 1-line block ×4, first 2 shown]
	v_add_f64 v[164:165], v[6:7], -v[8:9]
	v_add_f64 v[158:159], v[14:15], -v[20:21]
	;; [unrolled: 1-line block ×10, first 2 shown]
	v_fma_f64 v[56:57], v[56:57], -0.5, v[103:104]
	v_add_f64 v[132:133], v[46:47], -v[48:49]
	v_fma_f64 v[52:53], v[52:53], -0.5, v[103:104]
	v_add_f64 v[102:103], v[12:13], -v[26:27]
	v_fma_f64 v[76:77], v[76:77], -0.5, v[4:5]
	v_fma_f64 v[4:5], v[94:95], -0.5, v[4:5]
	v_add_f64 v[170:171], v[12:13], -v[6:7]
	v_add_f64 v[6:7], v[6:7], -v[12:13]
	v_add_f64 v[18:19], v[24:25], v[18:19]
	v_add_f64 v[136:137], v[42:43], -v[50:51]
	v_add_f64 v[140:141], v[50:51], -v[42:43]
	;; [unrolled: 1-line block ×5, first 2 shown]
	v_add_f64 v[24:25], v[32:33], v[142:143]
	v_add_f64 v[54:55], v[54:55], v[58:59]
	v_fma_f64 v[68:69], v[68:69], -0.5, v[30:31]
	v_fma_f64 v[30:31], v[72:73], -0.5, v[30:31]
	v_add_f64 v[32:33], v[86:87], v[160:161]
	v_fma_f64 v[72:73], v[74:75], -0.5, v[28:29]
	v_add_f64 v[74:75], v[88:89], -v[92:93]
	v_fma_f64 v[28:29], v[78:79], -0.5, v[28:29]
	v_fma_f64 v[98:99], v[98:99], -0.5, v[0:1]
	v_add_f64 v[78:79], v[86:87], -v[90:91]
	v_fma_f64 v[0:1], v[100:101], -0.5, v[0:1]
	v_fma_f64 v[111:112], v[111:112], -0.5, v[2:3]
	v_add_f64 v[14:15], v[14:15], v[150:151]
	v_fma_f64 v[2:3], v[113:114], -0.5, v[2:3]
	v_add_f64 v[12:13], v[12:13], v[162:163]
	v_add_f64 v[113:114], v[86:87], -v[88:89]
	v_add_f64 v[88:89], v[88:89], -v[86:87]
	v_add_f64 v[58:59], v[107:108], v[109:110]
	v_add_f64 v[46:47], v[46:47], v[115:116]
	;; [unrolled: 1-line block ×3, first 2 shown]
	v_add_f64 v[172:173], v[26:27], -v[8:9]
	v_add_f64 v[107:108], v[117:118], v[126:127]
	v_add_f64 v[100:101], v[10:11], -v[20:21]
	v_add_f64 v[146:147], v[20:21], -v[10:11]
	v_fma_f64 v[115:116], v[105:106], s[10:11], v[56:57]
	v_fma_f64 v[56:57], v[105:106], s[8:9], v[56:57]
	;; [unrolled: 1-line block ×8, first 2 shown]
	v_add_f64 v[18:19], v[18:19], v[22:23]
	v_add_f64 v[134:135], v[134:135], v[136:137]
	;; [unrolled: 1-line block ×3, first 2 shown]
	v_add_co_u32 v64, vcc_lo, v180, v64
	v_add_f64 v[140:141], v[6:7], v[174:175]
	v_add_f64 v[22:23], v[42:43], v[24:25]
	v_add_co_ci_u32_e32 v65, vcc_lo, v181, v65, vcc_lo
	v_fma_f64 v[117:118], v[158:159], s[8:9], v[68:69]
	v_fma_f64 v[68:69], v[158:159], s[10:11], v[68:69]
	;; [unrolled: 1-line block ×16, first 2 shown]
	v_add_f64 v[14:15], v[14:15], v[20:21]
	v_add_f64 v[20:21], v[90:91], v[32:33]
	;; [unrolled: 1-line block ×6, first 2 shown]
	v_fma_f64 v[32:33], v[70:71], s[2:3], v[115:116]
	v_fma_f64 v[56:57], v[70:71], s[4:5], v[56:57]
	v_add_f64 v[94:95], v[170:171], v[172:173]
	v_fma_f64 v[26:27], v[105:106], s[4:5], v[52:53]
	v_add_f64 v[100:101], v[148:149], v[100:101]
	;; [unrolled: 2-line block ×3, first 2 shown]
	v_fma_f64 v[115:116], v[132:133], s[2:3], v[178:179]
	v_fma_f64 v[76:77], v[40:41], s[2:3], v[76:77]
	v_mad_u32_u24 v84, 0x762, v122, v124
	s_delay_alu instid0(VALU_DEP_1)
	v_add_nc_u32_e32 v120, 0x17a, v84
	v_lshlrev_b64 v[62:63], 4, v[84:85]
	v_fma_f64 v[42:43], v[16:17], s[2:3], v[117:118]
	v_fma_f64 v[16:17], v[16:17], s[4:5], v[68:69]
	;; [unrolled: 1-line block ×18, first 2 shown]
	v_add_co_u32 v126, vcc_lo, v180, v38
	v_add_co_ci_u32_e32 v127, vcc_lo, v181, v39, vcc_lo
	v_add_f64 v[4:5], v[14:15], v[10:11]
	v_add_f64 v[10:11], v[92:93], v[20:21]
	;; [unrolled: 1-line block ×3, first 2 shown]
	v_add_co_u32 v128, vcc_lo, v180, v36
	v_add_f64 v[2:3], v[82:83], v[6:7]
	v_add_f64 v[6:7], v[50:51], v[22:23]
	;; [unrolled: 1-line block ×3, first 2 shown]
	v_fma_f64 v[18:19], v[54:55], s[0:1], v[26:27]
	v_add_co_ci_u32_e32 v129, vcc_lo, v181, v37, vcc_lo
	v_fma_f64 v[14:15], v[54:55], s[0:1], v[24:25]
	v_fma_f64 v[22:23], v[58:59], s[0:1], v[32:33]
	;; [unrolled: 1-line block ×4, first 2 shown]
	v_add_nc_u32_e32 v122, 0x2f4, v84
	v_fma_f64 v[26:27], v[134:135], s[0:1], v[42:43]
	v_fma_f64 v[30:31], v[134:135], s[0:1], v[16:17]
	;; [unrolled: 1-line block ×19, first 2 shown]
	v_lshlrev_b64 v[119:120], 4, v[120:121]
	v_add_nc_u32_e32 v124, 0x46e, v84
	v_lshlrev_b64 v[68:69], 4, v[122:123]
	v_add_co_u32 v62, vcc_lo, v180, v62
	v_add_nc_u32_e32 v84, 0x5e8, v84
	v_add_co_ci_u32_e32 v63, vcc_lo, v181, v63, vcc_lo
	v_lshlrev_b64 v[70:71], 4, v[124:125]
	v_add_co_u32 v74, vcc_lo, v180, v119
	v_add_co_ci_u32_e32 v75, vcc_lo, v181, v120, vcc_lo
	v_lshlrev_b64 v[72:73], 4, v[84:85]
	v_add_co_u32 v68, vcc_lo, v180, v68
	v_add_co_ci_u32_e32 v69, vcc_lo, v181, v69, vcc_lo
	v_add_co_u32 v70, vcc_lo, v180, v70
	v_add_co_ci_u32_e32 v71, vcc_lo, v181, v71, vcc_lo
	;; [unrolled: 2-line block ×3, first 2 shown]
	s_clause 0xe
	global_store_b128 v[80:81], v[8:11], off
	global_store_b128 v[96:97], v[48:51], off offset:1952
	global_store_b128 v[152:153], v[40:43], off offset:3904
	;; [unrolled: 1-line block ×4, first 2 shown]
	global_store_b128 v[60:61], v[4:7], off
	global_store_b128 v[66:67], v[52:55], off
	;; [unrolled: 1-line block ×10, first 2 shown]
.LBB0_29:
	s_nop 0
	s_sendmsg sendmsg(MSG_DEALLOC_VGPRS)
	s_endpgm
	.section	.rodata,"a",@progbits
	.p2align	6, 0x0
	.amdhsa_kernel fft_rtc_back_len1890_factors_2_3_3_3_7_5_wgs_126_tpt_126_halfLds_dp_op_CI_CI_unitstride_sbrr_dirReg
		.amdhsa_group_segment_fixed_size 0
		.amdhsa_private_segment_fixed_size 0
		.amdhsa_kernarg_size 104
		.amdhsa_user_sgpr_count 15
		.amdhsa_user_sgpr_dispatch_ptr 0
		.amdhsa_user_sgpr_queue_ptr 0
		.amdhsa_user_sgpr_kernarg_segment_ptr 1
		.amdhsa_user_sgpr_dispatch_id 0
		.amdhsa_user_sgpr_private_segment_size 0
		.amdhsa_wavefront_size32 1
		.amdhsa_uses_dynamic_stack 0
		.amdhsa_enable_private_segment 0
		.amdhsa_system_sgpr_workgroup_id_x 1
		.amdhsa_system_sgpr_workgroup_id_y 0
		.amdhsa_system_sgpr_workgroup_id_z 0
		.amdhsa_system_sgpr_workgroup_info 0
		.amdhsa_system_vgpr_workitem_id 0
		.amdhsa_next_free_vgpr 182
		.amdhsa_next_free_sgpr 28
		.amdhsa_reserve_vcc 1
		.amdhsa_float_round_mode_32 0
		.amdhsa_float_round_mode_16_64 0
		.amdhsa_float_denorm_mode_32 3
		.amdhsa_float_denorm_mode_16_64 3
		.amdhsa_dx10_clamp 1
		.amdhsa_ieee_mode 1
		.amdhsa_fp16_overflow 0
		.amdhsa_workgroup_processor_mode 1
		.amdhsa_memory_ordered 1
		.amdhsa_forward_progress 0
		.amdhsa_shared_vgpr_count 0
		.amdhsa_exception_fp_ieee_invalid_op 0
		.amdhsa_exception_fp_denorm_src 0
		.amdhsa_exception_fp_ieee_div_zero 0
		.amdhsa_exception_fp_ieee_overflow 0
		.amdhsa_exception_fp_ieee_underflow 0
		.amdhsa_exception_fp_ieee_inexact 0
		.amdhsa_exception_int_div_zero 0
	.end_amdhsa_kernel
	.text
.Lfunc_end0:
	.size	fft_rtc_back_len1890_factors_2_3_3_3_7_5_wgs_126_tpt_126_halfLds_dp_op_CI_CI_unitstride_sbrr_dirReg, .Lfunc_end0-fft_rtc_back_len1890_factors_2_3_3_3_7_5_wgs_126_tpt_126_halfLds_dp_op_CI_CI_unitstride_sbrr_dirReg
                                        ; -- End function
	.section	.AMDGPU.csdata,"",@progbits
; Kernel info:
; codeLenInByte = 14292
; NumSgprs: 30
; NumVgprs: 182
; ScratchSize: 0
; MemoryBound: 1
; FloatMode: 240
; IeeeMode: 1
; LDSByteSize: 0 bytes/workgroup (compile time only)
; SGPRBlocks: 3
; VGPRBlocks: 22
; NumSGPRsForWavesPerEU: 30
; NumVGPRsForWavesPerEU: 182
; Occupancy: 8
; WaveLimiterHint : 1
; COMPUTE_PGM_RSRC2:SCRATCH_EN: 0
; COMPUTE_PGM_RSRC2:USER_SGPR: 15
; COMPUTE_PGM_RSRC2:TRAP_HANDLER: 0
; COMPUTE_PGM_RSRC2:TGID_X_EN: 1
; COMPUTE_PGM_RSRC2:TGID_Y_EN: 0
; COMPUTE_PGM_RSRC2:TGID_Z_EN: 0
; COMPUTE_PGM_RSRC2:TIDIG_COMP_CNT: 0
	.text
	.p2alignl 7, 3214868480
	.fill 96, 4, 3214868480
	.type	__hip_cuid_8d6d3bde307564a3,@object ; @__hip_cuid_8d6d3bde307564a3
	.section	.bss,"aw",@nobits
	.globl	__hip_cuid_8d6d3bde307564a3
__hip_cuid_8d6d3bde307564a3:
	.byte	0                               ; 0x0
	.size	__hip_cuid_8d6d3bde307564a3, 1

	.ident	"AMD clang version 19.0.0git (https://github.com/RadeonOpenCompute/llvm-project roc-6.4.0 25133 c7fe45cf4b819c5991fe208aaa96edf142730f1d)"
	.section	".note.GNU-stack","",@progbits
	.addrsig
	.addrsig_sym __hip_cuid_8d6d3bde307564a3
	.amdgpu_metadata
---
amdhsa.kernels:
  - .args:
      - .actual_access:  read_only
        .address_space:  global
        .offset:         0
        .size:           8
        .value_kind:     global_buffer
      - .offset:         8
        .size:           8
        .value_kind:     by_value
      - .actual_access:  read_only
        .address_space:  global
        .offset:         16
        .size:           8
        .value_kind:     global_buffer
      - .actual_access:  read_only
        .address_space:  global
        .offset:         24
        .size:           8
        .value_kind:     global_buffer
      - .actual_access:  read_only
        .address_space:  global
        .offset:         32
        .size:           8
        .value_kind:     global_buffer
      - .offset:         40
        .size:           8
        .value_kind:     by_value
      - .actual_access:  read_only
        .address_space:  global
        .offset:         48
        .size:           8
        .value_kind:     global_buffer
      - .actual_access:  read_only
        .address_space:  global
        .offset:         56
        .size:           8
        .value_kind:     global_buffer
      - .offset:         64
        .size:           4
        .value_kind:     by_value
      - .actual_access:  read_only
        .address_space:  global
        .offset:         72
        .size:           8
        .value_kind:     global_buffer
      - .actual_access:  read_only
        .address_space:  global
        .offset:         80
        .size:           8
        .value_kind:     global_buffer
      - .actual_access:  read_only
        .address_space:  global
        .offset:         88
        .size:           8
        .value_kind:     global_buffer
      - .actual_access:  write_only
        .address_space:  global
        .offset:         96
        .size:           8
        .value_kind:     global_buffer
    .group_segment_fixed_size: 0
    .kernarg_segment_align: 8
    .kernarg_segment_size: 104
    .language:       OpenCL C
    .language_version:
      - 2
      - 0
    .max_flat_workgroup_size: 126
    .name:           fft_rtc_back_len1890_factors_2_3_3_3_7_5_wgs_126_tpt_126_halfLds_dp_op_CI_CI_unitstride_sbrr_dirReg
    .private_segment_fixed_size: 0
    .sgpr_count:     30
    .sgpr_spill_count: 0
    .symbol:         fft_rtc_back_len1890_factors_2_3_3_3_7_5_wgs_126_tpt_126_halfLds_dp_op_CI_CI_unitstride_sbrr_dirReg.kd
    .uniform_work_group_size: 1
    .uses_dynamic_stack: false
    .vgpr_count:     182
    .vgpr_spill_count: 0
    .wavefront_size: 32
    .workgroup_processor_mode: 1
amdhsa.target:   amdgcn-amd-amdhsa--gfx1100
amdhsa.version:
  - 1
  - 2
...

	.end_amdgpu_metadata
